;; amdgpu-corpus repo=ROCm/rocFFT kind=compiled arch=gfx1030 opt=O3
	.text
	.amdgcn_target "amdgcn-amd-amdhsa--gfx1030"
	.amdhsa_code_object_version 6
	.protected	fft_rtc_fwd_len1575_factors_3_3_5_7_5_wgs_63_tpt_63_halfLds_half_ip_CI_sbrr_dirReg ; -- Begin function fft_rtc_fwd_len1575_factors_3_3_5_7_5_wgs_63_tpt_63_halfLds_half_ip_CI_sbrr_dirReg
	.globl	fft_rtc_fwd_len1575_factors_3_3_5_7_5_wgs_63_tpt_63_halfLds_half_ip_CI_sbrr_dirReg
	.p2align	8
	.type	fft_rtc_fwd_len1575_factors_3_3_5_7_5_wgs_63_tpt_63_halfLds_half_ip_CI_sbrr_dirReg,@function
fft_rtc_fwd_len1575_factors_3_3_5_7_5_wgs_63_tpt_63_halfLds_half_ip_CI_sbrr_dirReg: ; @fft_rtc_fwd_len1575_factors_3_3_5_7_5_wgs_63_tpt_63_halfLds_half_ip_CI_sbrr_dirReg
; %bb.0:
	s_clause 0x2
	s_load_dwordx2 s[14:15], s[4:5], 0x18
	s_load_dwordx4 s[8:11], s[4:5], 0x0
	s_load_dwordx2 s[12:13], s[4:5], 0x50
	v_mul_u32_u24_e32 v1, 0x411, v0
	v_mov_b32_e32 v3, 0
	v_add_nc_u32_sdwa v5, s6, v1 dst_sel:DWORD dst_unused:UNUSED_PAD src0_sel:DWORD src1_sel:WORD_1
	v_mov_b32_e32 v1, 0
	v_mov_b32_e32 v6, v3
	v_mov_b32_e32 v2, 0
	s_waitcnt lgkmcnt(0)
	s_load_dwordx2 s[2:3], s[14:15], 0x0
	v_cmp_lt_u64_e64 s0, s[10:11], 2
	s_and_b32 vcc_lo, exec_lo, s0
	s_cbranch_vccnz .LBB0_8
; %bb.1:
	s_load_dwordx2 s[0:1], s[4:5], 0x10
	v_mov_b32_e32 v1, 0
	s_add_u32 s6, s14, 8
	v_mov_b32_e32 v2, 0
	s_addc_u32 s7, s15, 0
	s_mov_b64 s[18:19], 1
	s_waitcnt lgkmcnt(0)
	s_add_u32 s16, s0, 8
	s_addc_u32 s17, s1, 0
.LBB0_2:                                ; =>This Inner Loop Header: Depth=1
	s_load_dwordx2 s[20:21], s[16:17], 0x0
                                        ; implicit-def: $vgpr7_vgpr8
	s_mov_b32 s0, exec_lo
	s_waitcnt lgkmcnt(0)
	v_or_b32_e32 v4, s21, v6
	v_cmpx_ne_u64_e32 0, v[3:4]
	s_xor_b32 s1, exec_lo, s0
	s_cbranch_execz .LBB0_4
; %bb.3:                                ;   in Loop: Header=BB0_2 Depth=1
	v_cvt_f32_u32_e32 v4, s20
	v_cvt_f32_u32_e32 v7, s21
	s_sub_u32 s0, 0, s20
	s_subb_u32 s22, 0, s21
	v_fmac_f32_e32 v4, 0x4f800000, v7
	v_rcp_f32_e32 v4, v4
	v_mul_f32_e32 v4, 0x5f7ffffc, v4
	v_mul_f32_e32 v7, 0x2f800000, v4
	v_trunc_f32_e32 v7, v7
	v_fmac_f32_e32 v4, 0xcf800000, v7
	v_cvt_u32_f32_e32 v7, v7
	v_cvt_u32_f32_e32 v4, v4
	v_mul_lo_u32 v8, s0, v7
	v_mul_hi_u32 v9, s0, v4
	v_mul_lo_u32 v10, s22, v4
	v_add_nc_u32_e32 v8, v9, v8
	v_mul_lo_u32 v9, s0, v4
	v_add_nc_u32_e32 v8, v8, v10
	v_mul_hi_u32 v10, v4, v9
	v_mul_lo_u32 v11, v4, v8
	v_mul_hi_u32 v12, v4, v8
	v_mul_hi_u32 v13, v7, v9
	v_mul_lo_u32 v9, v7, v9
	v_mul_hi_u32 v14, v7, v8
	v_mul_lo_u32 v8, v7, v8
	v_add_co_u32 v10, vcc_lo, v10, v11
	v_add_co_ci_u32_e32 v11, vcc_lo, 0, v12, vcc_lo
	v_add_co_u32 v9, vcc_lo, v10, v9
	v_add_co_ci_u32_e32 v9, vcc_lo, v11, v13, vcc_lo
	v_add_co_ci_u32_e32 v10, vcc_lo, 0, v14, vcc_lo
	v_add_co_u32 v8, vcc_lo, v9, v8
	v_add_co_ci_u32_e32 v9, vcc_lo, 0, v10, vcc_lo
	v_add_co_u32 v4, vcc_lo, v4, v8
	v_add_co_ci_u32_e32 v7, vcc_lo, v7, v9, vcc_lo
	v_mul_hi_u32 v8, s0, v4
	v_mul_lo_u32 v10, s22, v4
	v_mul_lo_u32 v9, s0, v7
	v_add_nc_u32_e32 v8, v8, v9
	v_mul_lo_u32 v9, s0, v4
	v_add_nc_u32_e32 v8, v8, v10
	v_mul_hi_u32 v10, v4, v9
	v_mul_lo_u32 v11, v4, v8
	v_mul_hi_u32 v12, v4, v8
	v_mul_hi_u32 v13, v7, v9
	v_mul_lo_u32 v9, v7, v9
	v_mul_hi_u32 v14, v7, v8
	v_mul_lo_u32 v8, v7, v8
	v_add_co_u32 v10, vcc_lo, v10, v11
	v_add_co_ci_u32_e32 v11, vcc_lo, 0, v12, vcc_lo
	v_add_co_u32 v9, vcc_lo, v10, v9
	v_add_co_ci_u32_e32 v9, vcc_lo, v11, v13, vcc_lo
	v_add_co_ci_u32_e32 v10, vcc_lo, 0, v14, vcc_lo
	v_add_co_u32 v8, vcc_lo, v9, v8
	v_add_co_ci_u32_e32 v9, vcc_lo, 0, v10, vcc_lo
	v_add_co_u32 v4, vcc_lo, v4, v8
	v_add_co_ci_u32_e32 v11, vcc_lo, v7, v9, vcc_lo
	v_mul_hi_u32 v13, v5, v4
	v_mad_u64_u32 v[9:10], null, v6, v4, 0
	v_mad_u64_u32 v[7:8], null, v5, v11, 0
	;; [unrolled: 1-line block ×3, first 2 shown]
	v_add_co_u32 v4, vcc_lo, v13, v7
	v_add_co_ci_u32_e32 v7, vcc_lo, 0, v8, vcc_lo
	v_add_co_u32 v4, vcc_lo, v4, v9
	v_add_co_ci_u32_e32 v4, vcc_lo, v7, v10, vcc_lo
	v_add_co_ci_u32_e32 v7, vcc_lo, 0, v12, vcc_lo
	v_add_co_u32 v4, vcc_lo, v4, v11
	v_add_co_ci_u32_e32 v9, vcc_lo, 0, v7, vcc_lo
	v_mul_lo_u32 v10, s21, v4
	v_mad_u64_u32 v[7:8], null, s20, v4, 0
	v_mul_lo_u32 v11, s20, v9
	v_sub_co_u32 v7, vcc_lo, v5, v7
	v_add3_u32 v8, v8, v11, v10
	v_sub_nc_u32_e32 v10, v6, v8
	v_subrev_co_ci_u32_e64 v10, s0, s21, v10, vcc_lo
	v_add_co_u32 v11, s0, v4, 2
	v_add_co_ci_u32_e64 v12, s0, 0, v9, s0
	v_sub_co_u32 v13, s0, v7, s20
	v_sub_co_ci_u32_e32 v8, vcc_lo, v6, v8, vcc_lo
	v_subrev_co_ci_u32_e64 v10, s0, 0, v10, s0
	v_cmp_le_u32_e32 vcc_lo, s20, v13
	v_cmp_eq_u32_e64 s0, s21, v8
	v_cndmask_b32_e64 v13, 0, -1, vcc_lo
	v_cmp_le_u32_e32 vcc_lo, s21, v10
	v_cndmask_b32_e64 v14, 0, -1, vcc_lo
	v_cmp_le_u32_e32 vcc_lo, s20, v7
	;; [unrolled: 2-line block ×3, first 2 shown]
	v_cndmask_b32_e64 v15, 0, -1, vcc_lo
	v_cmp_eq_u32_e32 vcc_lo, s21, v10
	v_cndmask_b32_e64 v7, v15, v7, s0
	v_cndmask_b32_e32 v10, v14, v13, vcc_lo
	v_add_co_u32 v13, vcc_lo, v4, 1
	v_add_co_ci_u32_e32 v14, vcc_lo, 0, v9, vcc_lo
	v_cmp_ne_u32_e32 vcc_lo, 0, v10
	v_cndmask_b32_e32 v8, v14, v12, vcc_lo
	v_cndmask_b32_e32 v10, v13, v11, vcc_lo
	v_cmp_ne_u32_e32 vcc_lo, 0, v7
	v_cndmask_b32_e32 v8, v9, v8, vcc_lo
	v_cndmask_b32_e32 v7, v4, v10, vcc_lo
.LBB0_4:                                ;   in Loop: Header=BB0_2 Depth=1
	s_andn2_saveexec_b32 s0, s1
	s_cbranch_execz .LBB0_6
; %bb.5:                                ;   in Loop: Header=BB0_2 Depth=1
	v_cvt_f32_u32_e32 v4, s20
	s_sub_i32 s1, 0, s20
	v_rcp_iflag_f32_e32 v4, v4
	v_mul_f32_e32 v4, 0x4f7ffffe, v4
	v_cvt_u32_f32_e32 v4, v4
	v_mul_lo_u32 v7, s1, v4
	v_mul_hi_u32 v7, v4, v7
	v_add_nc_u32_e32 v4, v4, v7
	v_mul_hi_u32 v4, v5, v4
	v_mul_lo_u32 v7, v4, s20
	v_add_nc_u32_e32 v8, 1, v4
	v_sub_nc_u32_e32 v7, v5, v7
	v_subrev_nc_u32_e32 v9, s20, v7
	v_cmp_le_u32_e32 vcc_lo, s20, v7
	v_cndmask_b32_e32 v7, v7, v9, vcc_lo
	v_cndmask_b32_e32 v4, v4, v8, vcc_lo
	v_cmp_le_u32_e32 vcc_lo, s20, v7
	v_add_nc_u32_e32 v8, 1, v4
	v_cndmask_b32_e32 v7, v4, v8, vcc_lo
	v_mov_b32_e32 v8, v3
.LBB0_6:                                ;   in Loop: Header=BB0_2 Depth=1
	s_or_b32 exec_lo, exec_lo, s0
	s_load_dwordx2 s[0:1], s[6:7], 0x0
	v_mul_lo_u32 v4, v8, s20
	v_mul_lo_u32 v11, v7, s21
	v_mad_u64_u32 v[9:10], null, v7, s20, 0
	s_add_u32 s18, s18, 1
	s_addc_u32 s19, s19, 0
	s_add_u32 s6, s6, 8
	s_addc_u32 s7, s7, 0
	;; [unrolled: 2-line block ×3, first 2 shown]
	v_add3_u32 v4, v10, v11, v4
	v_sub_co_u32 v5, vcc_lo, v5, v9
	v_sub_co_ci_u32_e32 v4, vcc_lo, v6, v4, vcc_lo
	s_waitcnt lgkmcnt(0)
	v_mul_lo_u32 v6, s1, v5
	v_mul_lo_u32 v4, s0, v4
	v_mad_u64_u32 v[1:2], null, s0, v5, v[1:2]
	v_cmp_ge_u64_e64 s0, s[18:19], s[10:11]
	s_and_b32 vcc_lo, exec_lo, s0
	v_add3_u32 v2, v6, v2, v4
	s_cbranch_vccnz .LBB0_9
; %bb.7:                                ;   in Loop: Header=BB0_2 Depth=1
	v_mov_b32_e32 v5, v7
	v_mov_b32_e32 v6, v8
	s_branch .LBB0_2
.LBB0_8:
	v_mov_b32_e32 v8, v6
	v_mov_b32_e32 v7, v5
.LBB0_9:
	s_lshl_b64 s[0:1], s[10:11], 3
	v_mul_hi_u32 v3, 0x4104105, v0
	s_add_u32 s0, s14, s0
	s_addc_u32 s1, s15, s1
	s_load_dwordx2 s[4:5], s[4:5], 0x20
	s_load_dwordx2 s[0:1], s[0:1], 0x0
                                        ; implicit-def: $vgpr23
                                        ; implicit-def: $vgpr31
                                        ; implicit-def: $vgpr32
                                        ; implicit-def: $vgpr30
                                        ; implicit-def: $vgpr29
	v_mul_u32_u24_e32 v3, 63, v3
	v_sub_nc_u32_e32 v10, v0, v3
	v_add_nc_u32_e32 v14, 63, v10
	v_add_nc_u32_e32 v12, 0x7e, v10
	;; [unrolled: 1-line block ×5, first 2 shown]
	s_waitcnt lgkmcnt(0)
	v_cmp_gt_u64_e32 vcc_lo, s[4:5], v[7:8]
	v_mul_lo_u32 v3, s0, v8
	v_mul_lo_u32 v4, s1, v7
	v_mad_u64_u32 v[0:1], null, s0, v7, v[1:2]
	v_cmp_le_u64_e64 s0, s[4:5], v[7:8]
	v_add_nc_u32_e32 v13, 0x17a, v10
	v_add_nc_u32_e32 v8, 0x1b9, v10
                                        ; implicit-def: $vgpr7
	v_add3_u32 v1, v4, v1, v3
                                        ; implicit-def: $vgpr3
	s_and_saveexec_b32 s1, s0
	s_xor_b32 s0, exec_lo, s1
; %bb.10:
	v_add_nc_u32_e32 v23, 63, v10
	v_add_nc_u32_e32 v7, 0x7e, v10
	;; [unrolled: 1-line block ×7, first 2 shown]
; %bb.11:
	s_or_saveexec_b32 s1, s0
	v_lshlrev_b64 v[0:1], 2, v[0:1]
                                        ; implicit-def: $vgpr50
                                        ; implicit-def: $vgpr2
                                        ; implicit-def: $vgpr90
                                        ; implicit-def: $vgpr19
                                        ; implicit-def: $vgpr89
                                        ; implicit-def: $vgpr20
                                        ; implicit-def: $vgpr88
                                        ; implicit-def: $vgpr16
                                        ; implicit-def: $vgpr87
                                        ; implicit-def: $vgpr18
                                        ; implicit-def: $vgpr85
                                        ; implicit-def: $vgpr25
                                        ; implicit-def: $vgpr70
                                        ; implicit-def: $vgpr17
                                        ; implicit-def: $vgpr80
                                        ; implicit-def: $vgpr22
                                        ; implicit-def: $vgpr81
                                        ; implicit-def: $vgpr24
                                        ; implicit-def: $vgpr72
                                        ; implicit-def: $vgpr6
                                        ; implicit-def: $vgpr82
                                        ; implicit-def: $vgpr46
                                        ; implicit-def: $vgpr73
                                        ; implicit-def: $vgpr37
                                        ; implicit-def: $vgpr74
                                        ; implicit-def: $vgpr38
                                        ; implicit-def: $vgpr79
                                        ; implicit-def: $vgpr43
                                        ; implicit-def: $vgpr78
                                        ; implicit-def: $vgpr45
                                        ; implicit-def: $vgpr71
                                        ; implicit-def: $vgpr51
                                        ; implicit-def: $vgpr52
                                        ; implicit-def: $vgpr69
                                        ; implicit-def: $vgpr28
                                        ; implicit-def: $vgpr27
                                        ; implicit-def: $vgpr83
                                        ; implicit-def: $vgpr47
                                        ; implicit-def: $vgpr86
                                        ; implicit-def: $vgpr48
                                        ; implicit-def: $vgpr84
                                        ; implicit-def: $vgpr49
                                        ; implicit-def: $vgpr91
                                        ; implicit-def: $vgpr26
                                        ; implicit-def: $vgpr77
                                        ; implicit-def: $vgpr36
                                        ; implicit-def: $vgpr92
                                        ; implicit-def: $vgpr34
                                        ; implicit-def: $vgpr75
                                        ; implicit-def: $vgpr4
                                        ; implicit-def: $vgpr93
                                        ; implicit-def: $vgpr21
                                        ; implicit-def: $vgpr76
                                        ; implicit-def: $vgpr5
	s_xor_b32 exec_lo, exec_lo, s1
	s_cbranch_execz .LBB0_15
; %bb.12:
	v_mad_u64_u32 v[4:5], null, s2, v10, 0
	v_add_nc_u32_e32 v6, 0x20d, v10
	v_add_nc_u32_e32 v22, 0x41a, v10
	v_mad_u64_u32 v[20:21], null, s2, v14, 0
	v_add_nc_u32_e32 v31, 0x459, v10
	v_mad_u64_u32 v[16:17], null, s2, v6, 0
	v_mov_b32_e32 v2, v5
	v_mad_u64_u32 v[18:19], null, s2, v22, 0
	v_add_nc_u32_e32 v37, 0x498, v10
	v_add_nc_u32_e32 v42, 0x2ca, v10
	v_mad_u64_u32 v[2:3], null, s3, v10, v[2:3]
	v_mov_b32_e32 v3, v17
	v_mad_u64_u32 v[48:49], null, s2, v13, 0
	v_mad_u64_u32 v[22:23], null, s3, v22, v[19:20]
	;; [unrolled: 1-line block ×3, first 2 shown]
	v_mov_b32_e32 v5, v2
	v_add_co_u32 v3, s0, s12, v0
	v_mov_b32_e32 v2, v21
	v_mov_b32_e32 v19, v22
	v_lshlrev_b64 v[4:5], 2, v[4:5]
	v_mov_b32_e32 v17, v6
	v_add_nc_u32_e32 v6, 0x24c, v10
	v_mad_u64_u32 v[24:25], null, s3, v14, v[2:3]
	v_add_co_ci_u32_e64 v7, s0, s13, v1, s0
	v_mad_u64_u32 v[22:23], null, s2, v6, 0
	v_lshlrev_b64 v[16:17], 2, v[16:17]
	v_add_co_u32 v4, s0, v3, v4
	v_mov_b32_e32 v21, v24
	v_mad_u64_u32 v[24:25], null, s2, v31, 0
	v_mov_b32_e32 v2, v23
	v_lshlrev_b64 v[18:19], 2, v[18:19]
	v_add_co_ci_u32_e64 v5, s0, v7, v5, s0
	v_add_co_u32 v16, s0, v3, v16
	v_mad_u64_u32 v[26:27], null, s3, v6, v[2:3]
	v_add_co_ci_u32_e64 v17, s0, v7, v17, s0
	v_mad_u64_u32 v[27:28], null, s2, v12, 0
	v_add_co_u32 v29, s0, v3, v18
	v_mov_b32_e32 v2, v25
	v_add_nc_u32_e32 v6, 0x28b, v10
	v_add_co_ci_u32_e64 v30, s0, v7, v19, s0
	v_lshlrev_b64 v[18:19], 2, v[20:21]
	v_mov_b32_e32 v23, v26
	v_mad_u64_u32 v[20:21], null, s3, v31, v[2:3]
	v_mad_u64_u32 v[31:32], null, s2, v6, 0
	v_mov_b32_e32 v2, v28
	v_add_co_u32 v33, s0, v3, v18
	v_add_co_ci_u32_e64 v34, s0, v7, v19, s0
	v_lshlrev_b64 v[18:19], 2, v[22:23]
	v_mov_b32_e32 v25, v20
	v_mad_u64_u32 v[20:21], null, s3, v12, v[2:3]
	v_mov_b32_e32 v2, v32
	v_mad_u64_u32 v[40:41], null, s2, v42, 0
	v_add_co_u32 v21, s0, v3, v18
	v_add_co_ci_u32_e64 v22, s0, v7, v19, s0
	v_lshlrev_b64 v[18:19], 2, v[24:25]
	v_mad_u64_u32 v[23:24], null, s3, v6, v[2:3]
	v_mad_u64_u32 v[24:25], null, s2, v37, 0
	v_mov_b32_e32 v28, v20
	v_add_co_u32 v35, s0, v3, v18
	v_add_co_ci_u32_e64 v36, s0, v7, v19, s0
	v_mov_b32_e32 v32, v23
	v_lshlrev_b64 v[18:19], 2, v[27:28]
	v_mad_u64_u32 v[26:27], null, s2, v11, 0
	v_mov_b32_e32 v2, v25
	v_lshlrev_b64 v[31:32], 2, v[31:32]
	v_mov_b32_e32 v6, v41
	s_mov_b32 s4, exec_lo
                                        ; implicit-def: $vgpr69
                                        ; implicit-def: $vgpr71
	v_mad_u64_u32 v[37:38], null, s3, v37, v[2:3]
	v_add_co_u32 v38, s0, v3, v18
	v_mov_b32_e32 v2, v27
	v_add_co_ci_u32_e64 v39, s0, v7, v19, s0
	v_add_co_u32 v27, s0, v3, v31
	v_add_co_ci_u32_e64 v28, s0, v7, v32, s0
	v_mad_u64_u32 v[31:32], null, s3, v11, v[2:3]
	v_mov_b32_e32 v25, v37
	v_add_nc_u32_e32 v32, 0x4d7, v10
	s_clause 0x7
	global_load_dword v2, v[4:5], off
	global_load_dword v19, v[16:17], off
	;; [unrolled: 1-line block ×8, first 2 shown]
	v_mad_u64_u32 v[28:29], null, s3, v42, v[6:7]
	v_lshlrev_b64 v[22:23], 2, v[24:25]
	v_mad_u64_u32 v[24:25], null, s2, v32, 0
	v_mov_b32_e32 v27, v31
	v_add_nc_u32_e32 v17, 0x309, v10
	v_mov_b32_e32 v41, v28
	v_mad_u64_u32 v[28:29], null, s2, v9, 0
	v_mov_b32_e32 v6, v25
	v_lshlrev_b64 v[26:27], 2, v[26:27]
	v_add_co_u32 v22, s0, v3, v22
	v_add_co_ci_u32_e64 v23, s0, v7, v23, s0
	v_mad_u64_u32 v[30:31], null, s3, v32, v[6:7]
	v_lshlrev_b64 v[31:32], 2, v[40:41]
	v_mov_b32_e32 v6, v29
	v_mad_u64_u32 v[33:34], null, s2, v17, 0
	v_add_co_u32 v26, s0, v3, v26
	v_add_co_ci_u32_e64 v27, s0, v7, v27, s0
	v_mov_b32_e32 v25, v30
	v_mad_u64_u32 v[29:30], null, s3, v9, v[6:7]
	v_add_co_u32 v30, s0, v3, v31
	v_add_co_ci_u32_e64 v31, s0, v7, v32, s0
	v_add_nc_u32_e32 v32, 0x516, v10
	v_lshlrev_b64 v[24:25], 2, v[24:25]
	v_mov_b32_e32 v6, v34
	v_mad_u64_u32 v[35:36], null, s2, v32, 0
	v_mad_u64_u32 v[37:38], null, s3, v17, v[6:7]
	v_add_co_u32 v38, s0, v3, v24
	v_add_co_ci_u32_e64 v39, s0, v7, v25, s0
	v_lshlrev_b64 v[24:25], 2, v[28:29]
	v_mad_u64_u32 v[28:29], null, s2, v15, 0
	v_mov_b32_e32 v6, v36
	v_mov_b32_e32 v34, v37
	v_add_nc_u32_e32 v17, 0x348, v10
	v_add_co_u32 v40, s0, v3, v24
	v_mad_u64_u32 v[36:37], null, s3, v32, v[6:7]
	v_mov_b32_e32 v6, v29
	v_add_co_ci_u32_e64 v41, s0, v7, v25, s0
	v_lshlrev_b64 v[24:25], 2, v[33:34]
	v_mad_u64_u32 v[42:43], null, s2, v17, 0
	v_mad_u64_u32 v[32:33], null, s3, v15, v[6:7]
	v_add_nc_u32_e32 v37, 0x555, v10
	v_add_co_u32 v44, s0, v3, v24
	v_add_co_ci_u32_e64 v45, s0, v7, v25, s0
	v_mov_b32_e32 v6, v43
	v_mov_b32_e32 v29, v32
	v_mad_u64_u32 v[32:33], null, s2, v37, 0
	v_lshlrev_b64 v[24:25], 2, v[35:36]
	v_mad_u64_u32 v[34:35], null, s3, v17, v[6:7]
	v_lshlrev_b64 v[28:29], 2, v[28:29]
	v_add_nc_u32_e32 v35, 0x387, v10
	v_mov_b32_e32 v6, v33
	v_add_co_u32 v46, s0, v3, v24
	v_add_co_ci_u32_e64 v47, s0, v7, v25, s0
	v_add_co_u32 v28, s0, v3, v28
	v_mov_b32_e32 v43, v34
	v_mad_u64_u32 v[33:34], null, s3, v37, v[6:7]
	v_add_co_ci_u32_e64 v29, s0, v7, v29, s0
	s_clause 0x7
	global_load_dword v25, v[22:23], off
	global_load_dword v17, v[26:27], off
	;; [unrolled: 1-line block ×8, first 2 shown]
	v_mov_b32_e32 v23, v49
	v_mad_u64_u32 v[29:30], null, s2, v35, 0
	v_add_nc_u32_e32 v44, 0x594, v10
	v_lshlrev_b64 v[31:32], 2, v[32:33]
	v_add_nc_u32_e32 v33, 0x3c6, v10
	v_lshlrev_b64 v[27:28], 2, v[42:43]
	v_add_co_u32 v27, s0, v3, v27
	v_add_co_ci_u32_e64 v28, s0, v7, v28, s0
	v_add_co_u32 v31, s0, v3, v31
	v_add_co_ci_u32_e64 v32, s0, v7, v32, s0
	s_waitcnt vmcnt(1)
	v_mad_u64_u32 v[37:38], null, s3, v13, v[23:24]
	v_mov_b32_e32 v23, v30
	v_mad_u64_u32 v[39:40], null, s3, v35, v[23:24]
	v_mov_b32_e32 v49, v37
	v_mad_u64_u32 v[37:38], null, s2, v44, 0
	v_mad_u64_u32 v[40:41], null, s2, v8, 0
	v_add_nc_u32_e32 v35, 0x5d3, v10
	v_mov_b32_e32 v30, v39
	v_lshlrev_b64 v[42:43], 2, v[48:49]
	v_mov_b32_e32 v23, v38
	v_lshlrev_b64 v[29:30], 2, v[29:30]
	v_add_co_u32 v42, s0, v3, v42
	v_mad_u64_u32 v[38:39], null, s3, v44, v[23:24]
	v_mov_b32_e32 v23, v41
	v_mad_u64_u32 v[44:45], null, s2, v33, 0
	v_add_co_ci_u32_e64 v43, s0, v7, v43, s0
	v_mad_u64_u32 v[46:47], null, s3, v8, v[23:24]
	v_mad_u64_u32 v[47:48], null, s2, v35, 0
	v_mov_b32_e32 v23, v45
	v_lshlrev_b64 v[37:38], 2, v[37:38]
	v_add_co_u32 v29, s0, v3, v29
	v_mov_b32_e32 v41, v46
	v_mad_u64_u32 v[45:46], null, s3, v33, v[23:24]
	v_mov_b32_e32 v23, v48
	v_add_co_ci_u32_e64 v30, s0, v7, v30, s0
	v_lshlrev_b64 v[39:40], 2, v[40:41]
	v_add_co_u32 v50, s0, v3, v37
	v_mad_u64_u32 v[48:49], null, s3, v35, v[23:24]
	v_add_co_ci_u32_e64 v51, s0, v7, v38, s0
	v_lshlrev_b64 v[37:38], 2, v[44:45]
	v_add_co_u32 v39, s0, v3, v39
	v_add_co_ci_u32_e64 v40, s0, v7, v40, s0
	v_lshlrev_b64 v[44:45], 2, v[47:48]
	v_add_co_u32 v52, s0, v3, v37
	v_add_co_ci_u32_e64 v53, s0, v7, v38, s0
	v_add_co_u32 v44, s0, v3, v44
	v_add_co_ci_u32_e64 v45, s0, v7, v45, s0
	s_clause 0x7
	global_load_dword v46, v[27:28], off
	global_load_dword v49, v[31:32], off
	;; [unrolled: 1-line block ×8, first 2 shown]
                                        ; implicit-def: $vgpr27
                                        ; implicit-def: $vgpr28
                                        ; implicit-def: $vgpr52
                                        ; implicit-def: $vgpr51
	v_cmpx_gt_u32_e32 21, v10
	s_cbranch_execz .LBB0_14
; %bb.13:
	v_add_nc_u32_e32 v33, 0x1f8, v10
	v_add_nc_u32_e32 v35, 0x405, v10
	;; [unrolled: 1-line block ×3, first 2 shown]
	v_mad_u64_u32 v[27:28], null, s2, v33, 0
	v_mad_u64_u32 v[29:30], null, s2, v35, 0
	;; [unrolled: 1-line block ×3, first 2 shown]
	v_mov_b32_e32 v23, v28
	v_mov_b32_e32 v28, v30
	;; [unrolled: 1-line block ×3, first 2 shown]
	v_mad_u64_u32 v[32:33], null, s3, v33, v[23:24]
	v_mad_u64_u32 v[39:40], null, s3, v35, v[28:29]
	;; [unrolled: 1-line block ×3, first 2 shown]
	v_mov_b32_e32 v28, v32
	v_mov_b32_e32 v30, v39
	;; [unrolled: 1-line block ×3, first 2 shown]
	v_lshlrev_b64 v[27:28], 2, v[27:28]
	v_lshlrev_b64 v[29:30], 2, v[29:30]
	;; [unrolled: 1-line block ×3, first 2 shown]
	v_add_co_u32 v27, s0, v3, v27
	v_add_co_ci_u32_e64 v28, s0, v7, v28, s0
	v_add_co_u32 v29, s0, v3, v29
	v_add_co_ci_u32_e64 v30, s0, v7, v30, s0
	;; [unrolled: 2-line block ×3, first 2 shown]
	s_clause 0x2
	global_load_dword v27, v[27:28], off
	global_load_dword v51, v[29:30], off
	global_load_dword v69, v[31:32], off
	s_waitcnt vmcnt(2)
	v_lshrrev_b32_e32 v28, 16, v27
	s_waitcnt vmcnt(1)
	v_lshrrev_b32_e32 v71, 16, v51
	s_waitcnt vmcnt(0)
	v_lshrrev_b32_e32 v52, 16, v69
.LBB0_14:
	s_or_b32 exec_lo, exec_lo, s4
	v_lshrrev_b32_e32 v50, 16, v2
	v_lshrrev_b32_e32 v90, 16, v19
	v_lshrrev_b32_e32 v89, 16, v20
	v_lshrrev_b32_e32 v76, 16, v5
	v_lshrrev_b32_e32 v88, 16, v16
	v_lshrrev_b32_e32 v93, 16, v21
	v_lshrrev_b32_e32 v75, 16, v4
	v_lshrrev_b32_e32 v87, 16, v18
	v_lshrrev_b32_e32 v85, 16, v25
	v_lshrrev_b32_e32 v70, 16, v17
	v_lshrrev_b32_e32 v92, 16, v34
	v_lshrrev_b32_e32 v80, 16, v22
	v_lshrrev_b32_e32 v77, 16, v36
	v_lshrrev_b32_e32 v91, 16, v26
	v_lshrrev_b32_e32 v81, 16, v24
	s_waitcnt vmcnt(8)
	v_lshrrev_b32_e32 v72, 16, v6
	s_waitcnt vmcnt(7)
	v_lshrrev_b32_e32 v82, 16, v46
	;; [unrolled: 2-line block ×9, first 2 shown]
	v_mov_b32_e32 v29, v8
	v_mov_b32_e32 v30, v13
	;; [unrolled: 1-line block ×7, first 2 shown]
.LBB0_15:
	s_or_b32 exec_lo, exec_lo, s1
	v_add_f16_e32 v33, v19, v20
	v_add_f16_e32 v35, v2, v19
	v_sub_f16_e32 v39, v90, v89
	v_add_f16_e32 v40, v21, v16
	v_add_f16_e32 v41, v18, v25
	v_fmac_f16_e32 v2, -0.5, v33
	v_add_f16_e32 v33, v5, v16
	v_add_f16_e32 v42, v35, v20
	v_fmac_f16_e32 v5, -0.5, v40
	v_sub_f16_e32 v35, v88, v93
	v_fmamk_f16 v40, v39, 0x3aee, v2
	v_fmac_f16_e32 v2, 0xbaee, v39
	v_add_f16_e32 v39, v21, v33
	v_add_f16_e32 v33, v4, v18
	v_fmac_f16_e32 v4, -0.5, v41
	v_sub_f16_e32 v41, v87, v85
	v_fmamk_f16 v44, v35, 0x3aee, v5
	v_fmac_f16_e32 v5, 0xbaee, v35
	v_add_f16_e32 v53, v33, v25
	v_add_f16_e32 v33, v34, v22
	v_fmamk_f16 v54, v41, 0x3aee, v4
	v_add_f16_e32 v35, v34, v17
	v_fmac_f16_e32 v4, 0xbaee, v41
	v_add_f16_e32 v41, v26, v24
	v_fmac_f16_e32 v17, -0.5, v33
	v_sub_f16_e32 v33, v92, v80
	v_add_f16_e32 v55, v35, v22
	v_add_f16_e32 v35, v26, v36
	v_fmac_f16_e32 v36, -0.5, v41
	v_sub_f16_e32 v41, v91, v81
	v_fmamk_f16 v56, v33, 0x3aee, v17
	v_fmac_f16_e32 v17, 0xbaee, v33
	v_add_f16_e32 v57, v35, v24
	v_add_f16_e32 v33, v49, v46
	v_fmamk_f16 v58, v41, 0x3aee, v36
	v_add_f16_e32 v35, v6, v46
	v_fmac_f16_e32 v36, 0xbaee, v41
	v_add_f16_e32 v41, v47, v48
	v_fmac_f16_e32 v6, -0.5, v33
	v_sub_f16_e32 v33, v82, v84
	;; [unrolled: 14-line block ×3, first 2 shown]
	v_add_f16_e32 v63, v35, v45
	v_add_f16_e32 v35, v51, v27
	v_fmac_f16_e32 v27, -0.5, v41
	v_sub_f16_e32 v41, v71, v52
	v_fmamk_f16 v64, v33, 0x3aee, v38
	v_fmac_f16_e32 v38, 0xbaee, v33
	v_add_f16_e32 v33, v69, v35
	v_mad_u32_u24 v65, v10, 6, 0
	v_fmamk_f16 v35, v41, 0x3aee, v27
	v_fmac_f16_e32 v27, 0xbaee, v41
	v_mul_u32_u24_e32 v41, 6, v10
	v_mad_i32_i24 v94, v23, 6, 0
	v_mad_i32_i24 v95, v7, 6, 0
	;; [unrolled: 1-line block ×7, first 2 shown]
	v_cmp_gt_u32_e64 s0, 21, v10
	v_add_nc_u32_e32 v101, 0, v41
	ds_write_b16 v65, v42
	ds_write_b16 v65, v40 offset:2
	ds_write_b16 v65, v2 offset:4
	ds_write_b16 v94, v39
	ds_write_b16 v94, v44 offset:2
	ds_write_b16 v94, v5 offset:4
	;; [unrolled: 3-line block ×8, first 2 shown]
	s_and_saveexec_b32 s1, s0
	s_cbranch_execz .LBB0_17
; %bb.16:
	ds_write_b16 v101, v33 offset:3024
	ds_write_b16 v101, v35 offset:3026
	;; [unrolled: 1-line block ×3, first 2 shown]
.LBB0_17:
	s_or_b32 exec_lo, exec_lo, s1
	v_lshlrev_b32_e32 v5, 2, v7
	v_lshlrev_b32_e32 v6, 2, v3
	;; [unrolled: 1-line block ×7, first 2 shown]
	v_lshl_add_u32 v17, v10, 1, 0
	v_sub_nc_u32_e32 v37, v95, v5
	v_sub_nc_u32_e32 v38, v96, v6
	;; [unrolled: 1-line block ×7, first 2 shown]
	s_waitcnt lgkmcnt(0)
	s_barrier
	buffer_gl0_inv
	ds_read_u16 v36, v17
	ds_read_u16 v65, v17 offset:1050
	ds_read_u16 v63, v17 offset:1176
	;; [unrolled: 1-line block ×13, first 2 shown]
	ds_read_u16 v42, v37
	ds_read_u16 v41, v38
	;; [unrolled: 1-line block ×6, first 2 shown]
	ds_read_u16 v68, v17 offset:2100
	ds_read_u16 v61, v17 offset:1932
	ds_read_u16 v44, v44
	ds_read_u16 v62, v17 offset:2982
	s_and_saveexec_b32 s1, s0
	s_cbranch_execz .LBB0_19
; %bb.18:
	ds_read_u16 v33, v17 offset:1008
	ds_read_u16 v35, v17 offset:2058
	;; [unrolled: 1-line block ×3, first 2 shown]
.LBB0_19:
	s_or_b32 exec_lo, exec_lo, s1
	v_add_f16_e32 v109, v90, v89
	v_add_f16_e32 v110, v50, v90
	v_sub_f16_e32 v19, v19, v20
	v_sub_nc_u32_e32 v90, 0, v108
	v_sub_f16_e32 v16, v16, v21
	v_fmac_f16_e32 v50, -0.5, v109
	v_add_f16_e32 v20, v110, v89
	v_add_f16_e32 v89, v93, v88
	;; [unrolled: 1-line block ×3, first 2 shown]
	v_sub_f16_e32 v18, v18, v25
	v_fmamk_f16 v108, v19, 0xbaee, v50
	v_fmac_f16_e32 v50, 0x3aee, v19
	v_add_f16_e32 v19, v87, v85
	v_fmac_f16_e32 v76, -0.5, v89
	v_add_f16_e32 v87, v75, v87
	v_sub_nc_u32_e32 v106, 0, v4
	v_sub_nc_u32_e32 v103, 0, v5
	v_fmac_f16_e32 v75, -0.5, v19
	v_fmamk_f16 v19, v16, 0xbaee, v76
	v_fmac_f16_e32 v76, 0x3aee, v16
	v_add_f16_e32 v25, v87, v85
	v_add_f16_e32 v16, v92, v80
	v_fmamk_f16 v85, v18, 0xbaee, v75
	v_fmac_f16_e32 v75, 0x3aee, v18
	v_add_f16_e32 v18, v91, v81
	v_add_f16_e32 v87, v92, v70
	v_fmac_f16_e32 v70, -0.5, v16
	v_sub_f16_e32 v16, v34, v22
	v_add_f16_e32 v34, v91, v77
	v_fmac_f16_e32 v77, -0.5, v18
	v_sub_f16_e32 v18, v26, v24
	v_add_f16_e32 v22, v87, v80
	v_fmamk_f16 v24, v16, 0xbaee, v70
	v_fmac_f16_e32 v70, 0x3aee, v16
	v_add_f16_e32 v26, v34, v81
	v_add_f16_e32 v16, v84, v82
	v_fmamk_f16 v80, v18, 0xbaee, v77
	v_add_f16_e32 v34, v72, v82
	v_fmac_f16_e32 v77, 0x3aee, v18
	v_add_f16_e32 v18, v83, v86
	v_fmac_f16_e32 v72, -0.5, v16
	v_sub_f16_e32 v16, v46, v49
	v_add_f16_e32 v46, v34, v84
	v_add_f16_e32 v34, v86, v73
	v_fmac_f16_e32 v73, -0.5, v18
	v_sub_f16_e32 v18, v48, v47
	v_fmamk_f16 v47, v16, 0xbaee, v72
	v_fmac_f16_e32 v72, 0x3aee, v16
	v_add_f16_e32 v16, v79, v78
	v_add_f16_e32 v48, v83, v34
	v_fmamk_f16 v49, v18, 0xbaee, v73
	v_fmac_f16_e32 v73, 0x3aee, v18
	v_add_f16_e32 v18, v71, v52
	v_add_f16_e32 v34, v74, v79
	v_fmac_f16_e32 v74, -0.5, v16
	v_sub_f16_e32 v16, v43, v45
	v_add_f16_e32 v43, v71, v28
	v_fmac_f16_e32 v28, -0.5, v18
	v_sub_f16_e32 v18, v51, v69
	v_sub_nc_u32_e32 v107, 0, v6
	v_sub_nc_u32_e32 v105, 0, v2
	;; [unrolled: 1-line block ×4, first 2 shown]
	v_add_f16_e32 v45, v34, v78
	v_fmamk_f16 v51, v16, 0xbaee, v74
	v_fmac_f16_e32 v74, 0x3aee, v16
	v_add_f16_e32 v34, v52, v43
	v_fmamk_f16 v69, v18, 0xbaee, v28
	v_fmac_f16_e32 v28, 0x3aee, v18
	v_add_nc_u32_e32 v16, 0x1f8, v10
	v_add_f16_e32 v21, v93, v88
	s_waitcnt lgkmcnt(0)
	s_barrier
	buffer_gl0_inv
	ds_write_b16 v101, v20
	ds_write_b16 v101, v108 offset:2
	ds_write_b16 v101, v50 offset:4
	ds_write_b16 v94, v21
	ds_write_b16 v94, v19 offset:2
	ds_write_b16 v94, v76 offset:4
	;; [unrolled: 3-line block ×8, first 2 shown]
	s_and_saveexec_b32 s1, s0
	s_cbranch_execz .LBB0_21
; %bb.20:
	v_mad_u32_u24 v18, v16, 6, 0
	ds_write_b16 v18, v34
	ds_write_b16 v18, v69 offset:2
	ds_write_b16 v18, v28 offset:4
.LBB0_21:
	s_or_b32 exec_lo, exec_lo, s1
	v_add_nc_u32_e32 v19, v95, v103
	s_waitcnt lgkmcnt(0)
	s_barrier
	buffer_gl0_inv
	v_add_nc_u32_e32 v20, v96, v107
	ds_read_u16 v45, v17
	ds_read_u16 v84, v17 offset:1050
	ds_read_u16 v82, v17 offset:1176
	;; [unrolled: 1-line block ×13, first 2 shown]
	v_add_nc_u32_e32 v22, v98, v105
	v_add_nc_u32_e32 v21, v99, v102
	v_add_nc_u32_e32 v24, v100, v104
	v_add_nc_u32_e32 v18, v94, v106
	v_add_nc_u32_e32 v25, v97, v90
	ds_read_u16 v51, v19
	ds_read_u16 v50, v20
	;; [unrolled: 1-line block ×6, first 2 shown]
	ds_read_u16 v86, v17 offset:2100
	ds_read_u16 v79, v17 offset:1932
	ds_read_u16 v52, v18
	ds_read_u16 v80, v17 offset:2982
	s_and_saveexec_b32 s1, s0
	s_cbranch_execz .LBB0_23
; %bb.22:
	ds_read_u16 v34, v17 offset:1008
	ds_read_u16 v69, v17 offset:2058
	ds_read_u16 v28, v17 offset:3108
.LBB0_23:
	s_or_b32 exec_lo, exec_lo, s1
	v_and_b32_e32 v43, 0xff, v10
	v_and_b32_e32 v26, 0xff, v23
	v_and_b32_e32 v25, 0xff, v7
	v_and_b32_e32 v24, 0xff, v3
	v_mov_b32_e32 v87, 3
	v_mul_lo_u16 v70, 0xab, v43
	v_mul_lo_u16 v88, 0xab, v26
	;; [unrolled: 1-line block ×3, first 2 shown]
	v_mov_b32_e32 v89, 0xaaab
	v_lshrrev_b16 v91, 9, v70
	v_lshrrev_b16 v88, 9, v88
	v_mul_lo_u16 v70, 0xab, v24
	v_lshrrev_b16 v90, 9, v90
	v_mul_u32_u24_sdwa v92, v31, v89 dst_sel:DWORD dst_unused:UNUSED_PAD src0_sel:WORD_0 src1_sel:DWORD
	v_mul_lo_u16 v93, v91, 3
	v_mul_lo_u16 v94, v88, 3
	v_lshrrev_b16 v96, 9, v70
	v_mul_lo_u16 v70, v90, 3
	v_mul_u32_u24_sdwa v95, v32, v89 dst_sel:DWORD dst_unused:UNUSED_PAD src0_sel:WORD_0 src1_sel:DWORD
	v_sub_nc_u16 v93, v10, v93
	v_sub_nc_u16 v94, v23, v94
	v_mul_u32_u24_sdwa v100, v30, v89 dst_sel:DWORD dst_unused:UNUSED_PAD src0_sel:WORD_0 src1_sel:DWORD
	v_sub_nc_u16 v98, v7, v70
	v_mul_lo_u16 v97, v96, 3
	v_lshlrev_b32_sdwa v70, v87, v93 dst_sel:DWORD dst_unused:UNUSED_PAD src0_sel:DWORD src1_sel:BYTE_0
	v_lshlrev_b32_sdwa v99, v87, v94 dst_sel:DWORD dst_unused:UNUSED_PAD src0_sel:DWORD src1_sel:BYTE_0
	v_lshrrev_b32_e32 v92, 17, v92
	v_lshrrev_b32_e32 v95, 17, v95
	;; [unrolled: 1-line block ×3, first 2 shown]
	s_clause 0x1
	global_load_dwordx2 v[113:114], v70, s[8:9]
	global_load_dwordx2 v[115:116], v99, s[8:9]
	v_mul_u32_u24_sdwa v70, v29, v89 dst_sel:DWORD dst_unused:UNUSED_PAD src0_sel:WORD_0 src1_sel:DWORD
	v_sub_nc_u16 v97, v3, v97
	v_lshlrev_b32_sdwa v101, v87, v98 dst_sel:DWORD dst_unused:UNUSED_PAD src0_sel:DWORD src1_sel:BYTE_0
	v_mul_lo_u16 v102, v92, 3
	v_mul_lo_u16 v104, v95, 3
	v_mul_lo_u16 v99, v103, 3
	v_lshrrev_b32_e32 v105, 17, v70
	v_lshlrev_b32_sdwa v100, v87, v97 dst_sel:DWORD dst_unused:UNUSED_PAD src0_sel:DWORD src1_sel:BYTE_0
	v_sub_nc_u16 v102, v31, v102
	v_mul_u32_u24_sdwa v89, v16, v89 dst_sel:DWORD dst_unused:UNUSED_PAD src0_sel:WORD_0 src1_sel:DWORD
	s_clause 0x1
	global_load_dwordx2 v[117:118], v101, s[8:9]
	global_load_dwordx2 v[119:120], v100, s[8:9]
	v_sub_nc_u16 v32, v32, v104
	v_mul_lo_u16 v100, v105, 3
	v_sub_nc_u16 v30, v30, v99
	v_lshlrev_b32_sdwa v70, v87, v102 dst_sel:DWORD dst_unused:UNUSED_PAD src0_sel:DWORD src1_sel:WORD_0
	v_lshrrev_b32_e32 v89, 17, v89
	v_lshlrev_b32_sdwa v99, v87, v32 dst_sel:DWORD dst_unused:UNUSED_PAD src0_sel:DWORD src1_sel:WORD_0
	v_sub_nc_u16 v29, v29, v100
	v_lshlrev_b32_sdwa v100, v87, v30 dst_sel:DWORD dst_unused:UNUSED_PAD src0_sel:DWORD src1_sel:WORD_0
	global_load_dwordx2 v[121:122], v70, s[8:9]
	v_mul_u32_u24_e32 v103, 18, v103
	global_load_dwordx2 v[123:124], v99, s[8:9]
	v_mul_u32_u24_e32 v101, 18, v95
	global_load_dwordx2 v[125:126], v100, s[8:9]
	v_mul_lo_u16 v70, v89, 3
	v_lshlrev_b32_sdwa v99, v87, v29 dst_sel:DWORD dst_unused:UNUSED_PAD src0_sel:DWORD src1_sel:WORD_0
	v_mov_b32_e32 v100, 1
	v_mul_u32_u24_e32 v104, 18, v105
	v_sub_nc_u16 v70, v16, v70
	v_lshlrev_b32_sdwa v97, v100, v97 dst_sel:DWORD dst_unused:UNUSED_PAD src0_sel:DWORD src1_sel:BYTE_0
	v_lshlrev_b32_sdwa v30, v100, v30 dst_sel:DWORD dst_unused:UNUSED_PAD src0_sel:DWORD src1_sel:WORD_0
	v_lshlrev_b32_sdwa v32, v100, v32 dst_sel:DWORD dst_unused:UNUSED_PAD src0_sel:DWORD src1_sel:WORD_0
	;; [unrolled: 1-line block ×3, first 2 shown]
	s_clause 0x1
	global_load_dwordx2 v[127:128], v99, s[8:9]
	global_load_dwordx2 v[129:130], v87, s[8:9]
	v_mov_b32_e32 v87, 18
	v_mul_u32_u24_e32 v99, 18, v92
	v_lshlrev_b32_sdwa v92, v100, v94 dst_sel:DWORD dst_unused:UNUSED_PAD src0_sel:DWORD src1_sel:BYTE_0
	v_lshlrev_b32_sdwa v29, v100, v29 dst_sel:DWORD dst_unused:UNUSED_PAD src0_sel:DWORD src1_sel:WORD_0
	s_waitcnt vmcnt(0) lgkmcnt(0)
	v_mul_u32_u24_sdwa v91, v91, v87 dst_sel:DWORD dst_unused:UNUSED_PAD src0_sel:WORD_0 src1_sel:DWORD
	v_mul_u32_u24_sdwa v88, v88, v87 dst_sel:DWORD dst_unused:UNUSED_PAD src0_sel:WORD_0 src1_sel:DWORD
	;; [unrolled: 1-line block ×4, first 2 shown]
	v_mul_lo_u16 v87, v89, 9
	v_lshlrev_b32_sdwa v89, v100, v93 dst_sel:DWORD dst_unused:UNUSED_PAD src0_sel:DWORD src1_sel:BYTE_0
	v_lshlrev_b32_sdwa v93, v100, v98 dst_sel:DWORD dst_unused:UNUSED_PAD src0_sel:DWORD src1_sel:BYTE_0
	v_lshlrev_b32_sdwa v98, v100, v102 dst_sel:DWORD dst_unused:UNUSED_PAD src0_sel:DWORD src1_sel:WORD_0
	v_add3_u32 v94, 0, v88, v92
	v_add3_u32 v92, 0, v96, v97
	;; [unrolled: 1-line block ×8, first 2 shown]
	s_barrier
	buffer_gl0_inv
	v_mul_f16_sdwa v112, v84, v113 dst_sel:DWORD dst_unused:UNUSED_PAD src0_sel:DWORD src1_sel:WORD_1
	v_mul_f16_sdwa v111, v65, v113 dst_sel:DWORD dst_unused:UNUSED_PAD src0_sel:DWORD src1_sel:WORD_1
	;; [unrolled: 1-line block ×7, first 2 shown]
	v_fma_f16 v112, v65, v113, -v112
	v_fmac_f16_e32 v111, v84, v113
	v_fma_f16 v84, v68, v114, -v131
	v_fma_f16 v68, v63, v115, -v132
	v_mul_f16_sdwa v109, v67, v116 dst_sel:DWORD dst_unused:UNUSED_PAD src0_sel:DWORD src1_sel:WORD_1
	v_mul_f16_sdwa v134, v78, v117 dst_sel:DWORD dst_unused:UNUSED_PAD src0_sel:DWORD src1_sel:WORD_1
	;; [unrolled: 1-line block ×6, first 2 shown]
	v_fmac_f16_e32 v110, v82, v115
	v_fma_f16 v82, v67, v116, -v133
	v_mul_f16_sdwa v107, v59, v117 dst_sel:DWORD dst_unused:UNUSED_PAD src0_sel:DWORD src1_sel:WORD_1
	v_mul_f16_sdwa v106, v57, v119 dst_sel:DWORD dst_unused:UNUSED_PAD src0_sel:DWORD src1_sel:WORD_1
	;; [unrolled: 1-line block ×10, first 2 shown]
	v_fma_f16 v63, v55, v121, -v138
	v_mul_f16_sdwa v101, v60, v122 dst_sel:DWORD dst_unused:UNUSED_PAD src0_sel:DWORD src1_sel:WORD_1
	v_mul_f16_sdwa v102, v54, v123 dst_sel:DWORD dst_unused:UNUSED_PAD src0_sel:DWORD src1_sel:WORD_1
	v_mul_f16_sdwa v98, v58, v124 dst_sel:DWORD dst_unused:UNUSED_PAD src0_sel:DWORD src1_sel:WORD_1
	v_mul_f16_sdwa v99, v53, v125 dst_sel:DWORD dst_unused:UNUSED_PAD src0_sel:DWORD src1_sel:WORD_1
	v_mul_f16_sdwa v32, v56, v126 dst_sel:DWORD dst_unused:UNUSED_PAD src0_sel:DWORD src1_sel:WORD_1
	v_fma_f16 v67, v59, v117, -v134
	v_fma_f16 v66, v66, v118, -v135
	v_fmac_f16_e32 v105, v83, v118
	v_fma_f16 v65, v57, v119, -v136
	v_fma_f16 v64, v64, v120, -v137
	v_mul_f16_sdwa v144, v79, v127 dst_sel:DWORD dst_unused:UNUSED_PAD src0_sel:DWORD src1_sel:WORD_1
	v_mul_f16_sdwa v146, v69, v129 dst_sel:DWORD dst_unused:UNUSED_PAD src0_sel:DWORD src1_sel:WORD_1
	;; [unrolled: 1-line block ×6, first 2 shown]
	v_fma_f16 v35, v35, v129, -v146
	v_fma_f16 v55, v27, v130, -v147
	v_mul_f16_sdwa v29, v61, v127 dst_sel:DWORD dst_unused:UNUSED_PAD src0_sel:DWORD src1_sel:WORD_1
	v_mul_f16_sdwa v30, v62, v128 dst_sel:DWORD dst_unused:UNUSED_PAD src0_sel:DWORD src1_sel:WORD_1
	v_fma_f16 v60, v60, v122, -v139
	v_fma_f16 v59, v54, v123, -v140
	;; [unrolled: 1-line block ×7, first 2 shown]
	v_fmac_f16_e32 v96, v69, v129
	v_fmac_f16_e32 v97, v28, v130
	v_add_f16_e32 v27, v36, v112
	v_add_f16_e32 v118, v35, v55
	v_fmac_f16_e32 v108, v86, v114
	v_add_f16_e32 v28, v112, v84
	v_fmac_f16_e32 v109, v85, v116
	;; [unrolled: 2-line block ×3, first 2 shown]
	v_fmac_f16_e32 v106, v76, v119
	v_fmac_f16_e32 v104, v81, v120
	;; [unrolled: 1-line block ×10, first 2 shown]
	v_add_f16_e32 v73, v67, v66
	v_add_f16_e32 v76, v65, v64
	;; [unrolled: 1-line block ×6, first 2 shown]
	v_sub_f16_e32 v119, v96, v97
	v_add_f16_e32 v120, v27, v84
	v_fma_f16 v27, -0.5, v118, v33
	v_sub_f16_e32 v61, v111, v108
	v_fmac_f16_e32 v36, -0.5, v28
	v_add_f16_e32 v62, v44, v68
	v_sub_f16_e32 v71, v110, v109
	v_fmac_f16_e32 v44, -0.5, v69
	v_add_f16_e32 v72, v42, v67
	v_sub_f16_e32 v74, v107, v105
	v_add_f16_e32 v75, v41, v65
	v_sub_f16_e32 v77, v106, v104
	;; [unrolled: 2-line block ×6, first 2 shown]
	v_fmac_f16_e32 v42, -0.5, v73
	v_fmac_f16_e32 v41, -0.5, v76
	;; [unrolled: 1-line block ×6, first 2 shown]
	v_fmamk_f16 v28, v119, 0x3aee, v27
	v_fmac_f16_e32 v27, 0xbaee, v119
	v_fmamk_f16 v79, v61, 0x3aee, v36
	v_fmac_f16_e32 v36, 0xbaee, v61
	v_add_f16_e32 v62, v62, v82
	v_fmamk_f16 v61, v71, 0x3aee, v44
	v_add_f16_e32 v69, v72, v66
	v_add_f16_e32 v72, v75, v64
	v_add_f16_e32 v73, v78, v60
	v_add_f16_e32 v75, v81, v58
	v_add_f16_e32 v76, v86, v56
	v_add_f16_e32 v78, v115, v54
	v_fmac_f16_e32 v44, 0xbaee, v71
	v_fmamk_f16 v71, v74, 0x3aee, v42
	v_fmac_f16_e32 v42, 0xbaee, v74
	v_fmamk_f16 v74, v77, 0x3aee, v41
	;; [unrolled: 2-line block ×6, first 2 shown]
	v_fmac_f16_e32 v37, 0xbaee, v117
	ds_write_b16 v95, v120
	ds_write_b16 v95, v79 offset:6
	ds_write_b16 v95, v36 offset:12
	ds_write_b16 v94, v62
	ds_write_b16 v94, v61 offset:6
	ds_write_b16 v94, v44 offset:12
	ds_write_b16 v93, v69
	ds_write_b16 v93, v71 offset:6
	ds_write_b16 v93, v42 offset:12
	ds_write_b16 v92, v72
	ds_write_b16 v92, v74 offset:6
	ds_write_b16 v92, v41 offset:12
	ds_write_b16 v91, v73
	ds_write_b16 v91, v77 offset:6
	ds_write_b16 v91, v40 offset:12
	ds_write_b16 v90, v75
	ds_write_b16 v90, v80 offset:6
	ds_write_b16 v90, v39 offset:12
	ds_write_b16 v89, v76
	ds_write_b16 v89, v81 offset:6
	ds_write_b16 v89, v38 offset:12
	ds_write_b16 v88, v78
	ds_write_b16 v88, v83 offset:6
	ds_write_b16 v88, v37 offset:12
	s_and_saveexec_b32 s1, s0
	s_cbranch_execz .LBB0_25
; %bb.24:
	v_add_f16_e32 v33, v33, v35
	v_lshlrev_b32_sdwa v36, v100, v70 dst_sel:DWORD dst_unused:UNUSED_PAD src0_sel:DWORD src1_sel:WORD_0
	v_lshlrev_b32_sdwa v37, v100, v87 dst_sel:DWORD dst_unused:UNUSED_PAD src0_sel:DWORD src1_sel:WORD_0
	v_add_f16_e32 v33, v33, v55
	v_add3_u32 v36, 0, v36, v37
	ds_write_b16 v36, v33
	ds_write_b16 v36, v28 offset:6
	ds_write_b16 v36, v27 offset:12
.LBB0_25:
	s_or_b32 exec_lo, exec_lo, s1
	v_add_f16_e32 v33, v111, v108
	v_add_f16_e32 v36, v45, v111
	v_sub_f16_e32 v37, v112, v84
	v_sub_f16_e32 v39, v68, v82
	v_add_f16_e32 v38, v110, v109
	v_fmac_f16_e32 v45, -0.5, v33
	v_add_f16_e32 v33, v52, v110
	v_add_f16_e32 v62, v36, v108
	;; [unrolled: 1-line block ×3, first 2 shown]
	v_fmac_f16_e32 v52, -0.5, v38
	v_fmamk_f16 v68, v37, 0xbaee, v45
	v_add_f16_e32 v74, v33, v109
	v_add_f16_e32 v33, v107, v105
	v_fmac_f16_e32 v45, 0x3aee, v37
	v_add_f16_e32 v37, v106, v104
	v_add_f16_e32 v38, v99, v32
	v_fmamk_f16 v75, v39, 0xbaee, v52
	v_fmac_f16_e32 v51, -0.5, v33
	v_sub_f16_e32 v33, v67, v66
	v_add_f16_e32 v66, v36, v105
	v_add_f16_e32 v36, v50, v106
	v_fmac_f16_e32 v50, -0.5, v37
	v_sub_f16_e32 v37, v65, v64
	v_fmamk_f16 v64, v33, 0xbaee, v51
	v_fmac_f16_e32 v51, 0x3aee, v33
	v_add_f16_e32 v33, v103, v101
	v_add_f16_e32 v65, v36, v104
	v_fmamk_f16 v67, v37, 0xbaee, v50
	v_add_f16_e32 v36, v49, v103
	v_fmac_f16_e32 v50, 0x3aee, v37
	v_add_f16_e32 v37, v102, v98
	v_fmac_f16_e32 v49, -0.5, v33
	v_sub_f16_e32 v33, v63, v60
	v_add_f16_e32 v76, v36, v101
	v_add_f16_e32 v36, v48, v102
	v_fmac_f16_e32 v48, -0.5, v37
	v_sub_f16_e32 v37, v59, v58
	v_fmamk_f16 v77, v33, 0xbaee, v49
	v_fmac_f16_e32 v49, 0x3aee, v33
	v_add_f16_e32 v33, v47, v99
	v_add_f16_e32 v78, v36, v98
	v_fmamk_f16 v79, v37, 0xbaee, v48
	v_fmac_f16_e32 v48, 0x3aee, v37
	v_add_f16_e32 v37, v29, v30
	v_add_f16_e32 v80, v33, v32
	;; [unrolled: 1-line block ×3, first 2 shown]
	v_fmac_f16_e32 v47, -0.5, v38
	v_sub_f16_e32 v36, v57, v56
	v_add_f16_e32 v33, v46, v29
	v_fmac_f16_e32 v46, -0.5, v37
	v_sub_f16_e32 v37, v53, v54
	v_fma_f16 v29, -0.5, v32, v34
	v_sub_f16_e32 v32, v35, v55
	v_fmac_f16_e32 v52, 0x3aee, v39
	v_fmamk_f16 v81, v36, 0xbaee, v47
	v_fmac_f16_e32 v47, 0x3aee, v36
	v_add_f16_e32 v82, v33, v30
	v_fmamk_f16 v83, v37, 0xbaee, v46
	v_fmac_f16_e32 v46, 0x3aee, v37
	v_fmamk_f16 v30, v32, 0xbaee, v29
	v_fmac_f16_e32 v29, 0x3aee, v32
	s_waitcnt lgkmcnt(0)
	s_barrier
	buffer_gl0_inv
	ds_read_u16 v58, v21
	ds_read_u16 v56, v17 offset:1386
	ds_read_u16 v41, v17 offset:1512
	ds_read_u16 v36, v17
	ds_read_u16 v61, v17 offset:756
	ds_read_u16 v57, v17 offset:882
	ds_read_u16 v53, v17 offset:1008
	ds_read_u16 v42, v17 offset:1638
	ds_read_u16 v63, v17 offset:2016
	ds_read_u16 v59, v17 offset:2142
	ds_read_u16 v54, v17 offset:2268
	ds_read_u16 v69, v17 offset:2646
	ds_read_u16 v60, v17 offset:2772
	ds_read_u16 v55, v17 offset:2898
	ds_read_u16 v39, v19
	ds_read_u16 v38, v20
	;; [unrolled: 1-line block ×3, first 2 shown]
	ds_read_u16 v72, v17 offset:1260
	ds_read_u16 v35, v17 offset:1134
	;; [unrolled: 1-line block ×6, first 2 shown]
	ds_read_u16 v40, v18
	ds_read_u16 v37, v17 offset:3024
	s_waitcnt lgkmcnt(0)
	s_barrier
	buffer_gl0_inv
	ds_write_b16 v95, v62
	ds_write_b16 v95, v68 offset:6
	ds_write_b16 v95, v45 offset:12
	ds_write_b16 v94, v74
	ds_write_b16 v94, v75 offset:6
	ds_write_b16 v94, v52 offset:12
	;; [unrolled: 3-line block ×8, first 2 shown]
	s_and_saveexec_b32 s1, s0
	s_cbranch_execz .LBB0_27
; %bb.26:
	v_mov_b32_e32 v45, 1
	v_add_f16_e32 v34, v34, v96
	v_lshlrev_b32_sdwa v46, v45, v70 dst_sel:DWORD dst_unused:UNUSED_PAD src0_sel:DWORD src1_sel:WORD_0
	v_lshlrev_b32_sdwa v45, v45, v87 dst_sel:DWORD dst_unused:UNUSED_PAD src0_sel:DWORD src1_sel:WORD_0
	v_add_f16_e32 v34, v34, v97
	v_add3_u32 v45, 0, v46, v45
	ds_write_b16 v45, v34
	ds_write_b16 v45, v30 offset:6
	ds_write_b16 v45, v29 offset:12
.LBB0_27:
	s_or_b32 exec_lo, exec_lo, s1
	v_mul_lo_u16 v47, v25, 57
	v_mul_lo_u16 v34, v43, 57
	;; [unrolled: 1-line block ×3, first 2 shown]
	s_waitcnt lgkmcnt(0)
	s_barrier
	v_lshrrev_b16 v64, 9, v47
	v_mul_lo_u16 v47, v24, 57
	v_lshrrev_b16 v46, 9, v43
	v_mov_b32_e32 v43, 4
	buffer_gl0_inv
	v_mul_lo_u16 v52, v64, 9
	v_lshrrev_b16 v66, 9, v47
	v_lshrrev_b16 v34, 9, v34
	v_mul_lo_u16 v48, v46, 9
	v_mov_b32_e32 v75, 0x5a
	v_sub_nc_u16 v67, v7, v52
	v_mul_lo_u16 v47, v66, 9
	v_mul_lo_u16 v45, v34, 9
	v_sub_nc_u16 v65, v23, v48
	v_mov_b32_e32 v76, 1
	v_lshlrev_b32_sdwa v52, v43, v67 dst_sel:DWORD dst_unused:UNUSED_PAD src0_sel:DWORD src1_sel:BYTE_0
	v_sub_nc_u16 v68, v3, v47
	v_sub_nc_u16 v45, v10, v45
	v_lshlrev_b32_sdwa v62, v43, v65 dst_sel:DWORD dst_unused:UNUSED_PAD src0_sel:DWORD src1_sel:BYTE_0
	v_mul_u32_u24_sdwa v34, v34, v75 dst_sel:DWORD dst_unused:UNUSED_PAD src0_sel:WORD_0 src1_sel:DWORD
	global_load_dwordx4 v[107:110], v52, s[8:9] offset:24
	v_lshlrev_b32_sdwa v47, v43, v68 dst_sel:DWORD dst_unused:UNUSED_PAD src0_sel:DWORD src1_sel:BYTE_0
	v_lshlrev_b32_sdwa v49, v43, v45 dst_sel:DWORD dst_unused:UNUSED_PAD src0_sel:DWORD src1_sel:BYTE_0
	global_load_dwordx4 v[84:87], v62, s[8:9] offset:24
	v_lshlrev_b32_sdwa v45, v76, v45 dst_sel:DWORD dst_unused:UNUSED_PAD src0_sel:DWORD src1_sel:BYTE_0
	v_mul_u32_u24_sdwa v46, v46, v75 dst_sel:DWORD dst_unused:UNUSED_PAD src0_sel:WORD_0 src1_sel:DWORD
	global_load_dwordx4 v[111:114], v47, s[8:9] offset:24
	v_mov_b32_e32 v47, 0xe38f
	global_load_dwordx4 v[48:51], v49, s[8:9] offset:24
	v_mul_u32_u24_sdwa v64, v64, v75 dst_sel:DWORD dst_unused:UNUSED_PAD src0_sel:WORD_0 src1_sel:DWORD
	v_mul_u32_u24_sdwa v75, v66, v75 dst_sel:DWORD dst_unused:UNUSED_PAD src0_sel:WORD_0 src1_sel:DWORD
	v_lshlrev_b32_sdwa v65, v76, v65 dst_sel:DWORD dst_unused:UNUSED_PAD src0_sel:DWORD src1_sel:BYTE_0
	v_mul_u32_u24_sdwa v47, v31, v47 dst_sel:DWORD dst_unused:UNUSED_PAD src0_sel:WORD_0 src1_sel:DWORD
	v_lshlrev_b32_sdwa v66, v76, v67 dst_sel:DWORD dst_unused:UNUSED_PAD src0_sel:DWORD src1_sel:BYTE_0
	v_lshlrev_b32_sdwa v80, v76, v68 dst_sel:DWORD dst_unused:UNUSED_PAD src0_sel:DWORD src1_sel:BYTE_0
	v_add3_u32 v68, 0, v34, v45
	v_add3_u32 v67, 0, v46, v65
	v_lshrrev_b32_e32 v70, 19, v47
	v_add3_u32 v66, 0, v64, v66
	v_add3_u32 v65, 0, v75, v80
	v_cmp_gt_u32_e64 s0, 36, v10
	v_mul_lo_u16 v47, v70, 9
	v_mul_u32_u24_e32 v70, 0x5a, v70
	v_sub_nc_u16 v74, v31, v47
	v_lshlrev_b32_sdwa v31, v43, v74 dst_sel:DWORD dst_unused:UNUSED_PAD src0_sel:DWORD src1_sel:WORD_0
	v_lshlrev_b32_sdwa v34, v76, v74 dst_sel:DWORD dst_unused:UNUSED_PAD src0_sel:DWORD src1_sel:WORD_0
	global_load_dwordx4 v[115:118], v31, s[8:9] offset:24
	ds_read_u16 v77, v21
	ds_read_u16 v78, v17 offset:1386
	ds_read_u16 v79, v17 offset:1512
	ds_read_u16 v47, v17
	ds_read_u16 v89, v17 offset:756
	ds_read_u16 v94, v17 offset:882
	;; [unrolled: 1-line block ×10, first 2 shown]
	ds_read_u16 v52, v19
	ds_read_u16 v43, v20
	;; [unrolled: 1-line block ×3, first 2 shown]
	ds_read_u16 v99, v17 offset:1260
	ds_read_u16 v126, v17 offset:1134
	ds_read_u16 v100, v17 offset:2520
	ds_read_u16 v127, v17 offset:2394
	ds_read_u16 v101, v17 offset:1890
	ds_read_u16 v128, v17 offset:1764
	ds_read_u16 v62, v18
	ds_read_u16 v129, v17 offset:3024
	v_add3_u32 v64, 0, v70, v34
	s_waitcnt vmcnt(0) lgkmcnt(0)
	s_barrier
	buffer_gl0_inv
	v_mul_f16_sdwa v134, v94, v107 dst_sel:DWORD dst_unused:UNUSED_PAD src0_sel:DWORD src1_sel:WORD_1
	v_mul_f16_sdwa v80, v57, v107 dst_sel:DWORD dst_unused:UNUSED_PAD src0_sel:DWORD src1_sel:WORD_1
	;; [unrolled: 1-line block ×29, first 2 shown]
	v_fma_f16 v103, v58, v48, -v45
	v_fma_f16 v104, v72, v49, -v46
	v_fmac_f16_e32 v98, v99, v49
	v_fma_f16 v105, v73, v50, -v70
	v_fmac_f16_e32 v96, v101, v50
	;; [unrolled: 2-line block ×8, first 2 shown]
	v_fma_f16 v87, v41, v108, -v135
	v_fma_f16 v89, v59, v109, -v136
	;; [unrolled: 1-line block ×5, first 2 shown]
	v_mul_f16_sdwa v41, v126, v115 dst_sel:DWORD dst_unused:UNUSED_PAD src0_sel:DWORD src1_sel:WORD_1
	v_mul_f16_sdwa v42, v128, v116 dst_sel:DWORD dst_unused:UNUSED_PAD src0_sel:DWORD src1_sel:WORD_1
	;; [unrolled: 1-line block ×7, first 2 shown]
	v_fma_f16 v84, v54, v113, -v140
	v_fma_f16 v86, v55, v114, -v141
	v_fmac_f16_e32 v97, v77, v48
	v_fmac_f16_e32 v81, v79, v108
	;; [unrolled: 1-line block ×4, first 2 shown]
	v_mul_f16_sdwa v71, v35, v115 dst_sel:DWORD dst_unused:UNUSED_PAD src0_sel:DWORD src1_sel:WORD_1
	v_mul_f16_sdwa v72, v44, v116 dst_sel:DWORD dst_unused:UNUSED_PAD src0_sel:DWORD src1_sel:WORD_1
	;; [unrolled: 1-line block ×4, first 2 shown]
	v_fma_f16 v78, v35, v115, -v41
	v_fma_f16 v69, v44, v116, -v42
	;; [unrolled: 1-line block ×4, first 2 shown]
	v_add_f16_e32 v33, v36, v103
	v_add_f16_e32 v35, v104, v105
	v_sub_f16_e32 v42, v103, v104
	v_sub_f16_e32 v44, v106, v105
	v_add_f16_e32 v45, v103, v106
	v_sub_f16_e32 v46, v104, v103
	v_sub_f16_e32 v48, v105, v106
	v_add_f16_e32 v49, v40, v101
	v_add_f16_e32 v50, v99, v100
	v_sub_f16_e32 v54, v101, v99
	v_sub_f16_e32 v55, v102, v100
	v_add_f16_e32 v56, v101, v102
	v_sub_f16_e32 v108, v93, v87
	v_sub_f16_e32 v109, v94, v89
	v_add_f16_e32 v113, v38, v85
	v_fmac_f16_e32 v83, v124, v110
	v_fmac_f16_e32 v34, v119, v111
	;; [unrolled: 1-line block ×4, first 2 shown]
	v_sub_f16_e32 v57, v99, v101
	v_sub_f16_e32 v58, v100, v102
	v_add_f16_e32 v60, v87, v89
	v_add_f16_e32 v114, v63, v84
	;; [unrolled: 1-line block ×3, first 2 shown]
	v_fmac_f16_e32 v71, v126, v115
	v_fmac_f16_e32 v72, v128, v116
	;; [unrolled: 1-line block ×4, first 2 shown]
	v_sub_f16_e32 v37, v97, v95
	v_sub_f16_e32 v41, v98, v96
	v_add_f16_e32 v59, v39, v93
	v_add_f16_e32 v110, v93, v94
	v_sub_f16_e32 v111, v87, v93
	v_sub_f16_e32 v112, v89, v94
	;; [unrolled: 1-line block ×6, first 2 shown]
	v_add_f16_e32 v33, v33, v104
	v_fma_f16 v122, -0.5, v35, v36
	v_add_f16_e32 v42, v42, v44
	v_fmac_f16_e32 v36, -0.5, v45
	v_add_f16_e32 v44, v46, v48
	v_add_f16_e32 v35, v49, v99
	v_fma_f16 v45, -0.5, v50, v40
	v_add_f16_e32 v46, v54, v55
	v_fmac_f16_e32 v40, -0.5, v56
	v_add_f16_e32 v54, v108, v109
	v_add_f16_e32 v56, v113, v63
	;; [unrolled: 1-line block ×4, first 2 shown]
	v_sub_f16_e32 v51, v88, v92
	v_sub_f16_e32 v53, v90, v91
	;; [unrolled: 1-line block ×5, first 2 shown]
	v_add_f16_e32 v48, v57, v58
	v_fma_f16 v50, -0.5, v60, v39
	v_fma_f16 v57, -0.5, v114, v38
	v_fmac_f16_e32 v38, -0.5, v119
	v_add_f16_e32 v60, v32, v78
	v_sub_f16_e32 v107, v81, v82
	v_add_f16_e32 v49, v59, v87
	v_fmac_f16_e32 v39, -0.5, v110
	v_add_f16_e32 v55, v111, v112
	v_add_f16_e32 v58, v117, v118
	;; [unrolled: 1-line block ×3, first 2 shown]
	v_sub_f16_e32 v109, v71, v70
	v_sub_f16_e32 v110, v72, v73
	;; [unrolled: 1-line block ×4, first 2 shown]
	v_add_f16_e32 v33, v33, v105
	v_fmamk_f16 v118, v37, 0x3b9c, v122
	v_fmamk_f16 v119, v41, 0xbb9c, v36
	v_fmac_f16_e32 v36, 0x3b9c, v41
	v_add_f16_e32 v120, v35, v100
	v_fma_f16 v35, -0.5, v108, v32
	v_fmac_f16_e32 v32, -0.5, v113
	v_fmac_f16_e32 v122, 0xbb9c, v37
	v_fmamk_f16 v121, v51, 0x3b9c, v45
	v_fmac_f16_e32 v45, 0xbb9c, v51
	v_fmamk_f16 v123, v53, 0xbb9c, v40
	;; [unrolled: 2-line block ×5, first 2 shown]
	v_fmac_f16_e32 v38, 0x3b9c, v116
	v_add_f16_e32 v60, v60, v69
	v_sub_f16_e32 v114, v69, v78
	v_sub_f16_e32 v117, v77, v79
	v_fmamk_f16 v125, v107, 0xbb9c, v39
	v_fmac_f16_e32 v39, 0x3b9c, v107
	v_add_f16_e32 v108, v111, v112
	v_add_f16_e32 v112, v33, v106
	v_fmac_f16_e32 v118, 0x38b4, v41
	v_fmac_f16_e32 v119, 0x38b4, v37
	;; [unrolled: 1-line block ×3, first 2 shown]
	v_fmamk_f16 v33, v109, 0x3b9c, v35
	v_fmac_f16_e32 v35, 0xbb9c, v109
	v_fmamk_f16 v37, v110, 0xbb9c, v32
	v_fmac_f16_e32 v32, 0x3b9c, v110
	v_fmac_f16_e32 v122, 0xb8b4, v41
	v_add_f16_e32 v49, v49, v89
	v_add_f16_e32 v56, v56, v84
	v_fmac_f16_e32 v121, 0x38b4, v53
	v_fmac_f16_e32 v45, 0xb8b4, v53
	;; [unrolled: 1-line block ×6, first 2 shown]
	v_add_f16_e32 v53, v60, v77
	v_add_f16_e32 v111, v114, v117
	v_fmac_f16_e32 v123, 0x38b4, v51
	v_fmac_f16_e32 v124, 0x38b4, v107
	v_fmac_f16_e32 v125, 0x38b4, v61
	v_fmac_f16_e32 v39, 0xb8b4, v61
	v_fmac_f16_e32 v126, 0x38b4, v116
	v_fmac_f16_e32 v127, 0x38b4, v115
	v_fmac_f16_e32 v118, 0x34f2, v42
	v_fmac_f16_e32 v33, 0x38b4, v110
	v_fmac_f16_e32 v35, 0xb8b4, v110
	v_fmac_f16_e32 v37, 0x38b4, v109
	v_fmac_f16_e32 v32, 0xb8b4, v109
	v_fmac_f16_e32 v119, 0x34f2, v44
	v_fmac_f16_e32 v36, 0x34f2, v44
	v_fmac_f16_e32 v122, 0x34f2, v42
	v_add_f16_e32 v41, v120, v102
	v_add_f16_e32 v49, v49, v94
	;; [unrolled: 1-line block ×3, first 2 shown]
	v_fmac_f16_e32 v45, 0x34f2, v46
	v_fmac_f16_e32 v40, 0x34f2, v48
	;; [unrolled: 1-line block ×5, first 2 shown]
	v_add_f16_e32 v42, v53, v79
	v_fmac_f16_e32 v121, 0x34f2, v46
	v_fmac_f16_e32 v123, 0x34f2, v48
	;; [unrolled: 1-line block ×7, first 2 shown]
	ds_write_b16 v68, v112
	v_fmac_f16_e32 v33, 0x34f2, v108
	v_fmac_f16_e32 v35, 0x34f2, v108
	;; [unrolled: 1-line block ×4, first 2 shown]
	ds_write_b16 v68, v118 offset:18
	ds_write_b16 v68, v119 offset:36
	ds_write_b16 v68, v36 offset:54
	ds_write_b16 v68, v122 offset:72
	ds_write_b16 v67, v41
	ds_write_b16 v67, v121 offset:18
	ds_write_b16 v67, v123 offset:36
	ds_write_b16 v67, v40 offset:54
	ds_write_b16 v67, v45 offset:72
	ds_write_b16 v66, v49
	;; [unrolled: 5-line block ×4, first 2 shown]
	ds_write_b16 v64, v33 offset:18
	ds_write_b16 v64, v37 offset:36
	;; [unrolled: 1-line block ×4, first 2 shown]
	s_waitcnt lgkmcnt(0)
	s_barrier
	buffer_gl0_inv
	ds_read_u16 v55, v17
	ds_read_u16 v56, v17 offset:450
	ds_read_u16 v48, v17 offset:576
	ds_read_u16 v46, v17 offset:1026
	ds_read_u16 v45, v17 offset:1476
	ds_read_u16 v44, v17 offset:1926
	ds_read_u16 v57, v17 offset:2700
	ds_read_u16 v40, v17 offset:2826
	ds_read_u16 v36, v19
	ds_read_u16 v58, v17 offset:1350
	ds_read_u16 v41, v17 offset:1152
	ds_read_u16 v59, v17 offset:900
	ds_read_u16 v49, v17 offset:702
	ds_read_u16 v54, v17 offset:2376
	ds_read_u16 v42, v17 offset:2502
	ds_read_u16 v60, v17 offset:2250
	ds_read_u16 v50, v17 offset:2052
	ds_read_u16 v61, v17 offset:1800
	ds_read_u16 v53, v17 offset:1602
	ds_read_u16 v38, v18
	ds_read_u16 v51, v17 offset:2952
                                        ; implicit-def: $vgpr39
	s_and_saveexec_b32 s1, s0
	s_cbranch_execz .LBB0_29
; %bb.28:
	ds_read_u16 v37, v17 offset:828
	ds_read_u16 v32, v17 offset:1278
	;; [unrolled: 1-line block ×5, first 2 shown]
	ds_read_u16 v33, v20
	ds_read_u16 v39, v17 offset:3078
.LBB0_29:
	s_or_b32 exec_lo, exec_lo, s1
	v_add_f16_e32 v107, v98, v96
	v_add_f16_e32 v108, v47, v97
	v_sub_f16_e32 v103, v103, v106
	v_sub_f16_e32 v104, v104, v105
	;; [unrolled: 1-line block ×3, first 2 shown]
	v_fma_f16 v106, -0.5, v107, v47
	v_add_f16_e32 v109, v97, v95
	v_sub_f16_e32 v97, v98, v97
	v_add_f16_e32 v98, v108, v98
	v_sub_f16_e32 v107, v95, v96
	v_fmamk_f16 v108, v103, 0xbb9c, v106
	v_sub_f16_e32 v110, v96, v95
	v_fmac_f16_e32 v106, 0x3b9c, v103
	v_add_f16_e32 v96, v98, v96
	v_fmac_f16_e32 v47, -0.5, v109
	v_add_f16_e32 v105, v105, v107
	v_fmac_f16_e32 v108, 0xb8b4, v104
	v_fmac_f16_e32 v106, 0x38b4, v104
	v_add_f16_e32 v95, v96, v95
	v_add_f16_e32 v96, v97, v110
	v_add_f16_e32 v97, v62, v88
	v_fmamk_f16 v98, v104, 0x3b9c, v47
	v_add_f16_e32 v107, v90, v91
	v_fmac_f16_e32 v108, 0x34f2, v105
	v_fmac_f16_e32 v106, 0x34f2, v105
	;; [unrolled: 1-line block ×3, first 2 shown]
	v_add_f16_e32 v97, v97, v90
	v_add_f16_e32 v105, v88, v92
	v_fmac_f16_e32 v98, 0xb8b4, v103
	v_fma_f16 v107, -0.5, v107, v62
	v_sub_f16_e32 v101, v101, v102
	v_sub_f16_e32 v99, v99, v100
	;; [unrolled: 1-line block ×4, first 2 shown]
	v_fmac_f16_e32 v47, 0x38b4, v103
	v_add_f16_e32 v97, v97, v91
	v_fmac_f16_e32 v62, -0.5, v105
	v_sub_f16_e32 v88, v90, v88
	v_sub_f16_e32 v90, v91, v92
	v_add_f16_e32 v91, v52, v80
	v_fmac_f16_e32 v98, 0x34f2, v96
	v_fmamk_f16 v102, v101, 0xbb9c, v107
	v_fmac_f16_e32 v47, 0x34f2, v96
	v_add_f16_e32 v96, v97, v92
	v_fmac_f16_e32 v107, 0x3b9c, v101
	v_fmamk_f16 v97, v99, 0x3b9c, v62
	v_add_f16_e32 v92, v81, v82
	v_add_f16_e32 v88, v88, v90
	v_fmac_f16_e32 v62, 0xbb9c, v99
	v_add_f16_e32 v90, v91, v81
	v_fmac_f16_e32 v102, 0xb8b4, v99
	v_fmac_f16_e32 v107, 0x38b4, v99
	;; [unrolled: 1-line block ×3, first 2 shown]
	v_fma_f16 v91, -0.5, v92, v52
	v_sub_f16_e32 v92, v93, v94
	v_fmac_f16_e32 v62, 0x38b4, v101
	v_add_f16_e32 v90, v90, v82
	v_add_f16_e32 v94, v80, v83
	v_sub_f16_e32 v87, v87, v89
	v_sub_f16_e32 v89, v80, v81
	;; [unrolled: 1-line block ×5, first 2 shown]
	v_add_f16_e32 v82, v74, v75
	v_fmac_f16_e32 v97, 0x34f2, v88
	v_fmamk_f16 v93, v92, 0xbb9c, v91
	v_fmac_f16_e32 v62, 0x34f2, v88
	v_fmac_f16_e32 v52, -0.5, v94
	v_add_f16_e32 v88, v90, v83
	v_fmac_f16_e32 v91, 0x3b9c, v92
	v_add_f16_e32 v80, v80, v81
	v_add_f16_e32 v81, v43, v34
	v_fma_f16 v82, -0.5, v82, v43
	v_sub_f16_e32 v83, v85, v86
	v_fmac_f16_e32 v93, 0xb8b4, v87
	v_fmamk_f16 v90, v87, 0x3b9c, v52
	v_fmac_f16_e32 v91, 0x38b4, v87
	v_fmac_f16_e32 v52, 0xbb9c, v87
	v_add_f16_e32 v81, v81, v74
	v_fmamk_f16 v85, v83, 0xbb9c, v82
	v_sub_f16_e32 v63, v63, v84
	v_sub_f16_e32 v84, v34, v74
	;; [unrolled: 1-line block ×3, first 2 shown]
	v_fmac_f16_e32 v82, 0x3b9c, v83
	v_add_f16_e32 v87, v34, v76
	v_fmac_f16_e32 v90, 0xb8b4, v92
	v_fmac_f16_e32 v52, 0x38b4, v92
	v_add_f16_e32 v81, v81, v75
	v_fmac_f16_e32 v85, 0xb8b4, v63
	v_add_f16_e32 v84, v84, v86
	v_fmac_f16_e32 v82, 0x38b4, v63
	v_fmac_f16_e32 v43, -0.5, v87
	v_fmac_f16_e32 v90, 0x34f2, v80
	v_fmac_f16_e32 v52, 0x34f2, v80
	v_add_f16_e32 v80, v81, v76
	v_fmac_f16_e32 v85, 0x34f2, v84
	v_fmac_f16_e32 v82, 0x34f2, v84
	v_fmamk_f16 v81, v63, 0x3b9c, v43
	v_add_f16_e32 v84, v72, v73
	v_sub_f16_e32 v34, v74, v34
	v_sub_f16_e32 v74, v75, v76
	v_fmac_f16_e32 v43, 0xbb9c, v63
	v_add_f16_e32 v75, v31, v71
	v_sub_f16_e32 v76, v78, v79
	v_add_f16_e32 v78, v71, v70
	v_fma_f16 v63, -0.5, v84, v31
	v_fmac_f16_e32 v81, 0xb8b4, v83
	v_add_f16_e32 v74, v34, v74
	v_fmac_f16_e32 v43, 0x38b4, v83
	v_add_f16_e32 v75, v75, v72
	v_sub_f16_e32 v77, v69, v77
	v_fmac_f16_e32 v31, -0.5, v78
	v_fmamk_f16 v34, v76, 0xbb9c, v63
	v_fmac_f16_e32 v81, 0x34f2, v74
	v_fmac_f16_e32 v43, 0x34f2, v74
	v_add_f16_e32 v74, v75, v73
	v_sub_f16_e32 v75, v71, v72
	v_sub_f16_e32 v78, v70, v73
	v_fmac_f16_e32 v63, 0x3b9c, v76
	v_fmamk_f16 v69, v77, 0x3b9c, v31
	v_sub_f16_e32 v71, v72, v71
	v_sub_f16_e32 v72, v73, v70
	v_fmac_f16_e32 v31, 0xbb9c, v77
	v_add_f16_e32 v100, v100, v104
	v_add_f16_e32 v89, v89, v99
	v_fmac_f16_e32 v34, 0xb8b4, v77
	v_add_f16_e32 v73, v75, v78
	v_fmac_f16_e32 v63, 0x38b4, v77
	v_fmac_f16_e32 v69, 0xb8b4, v76
	v_add_f16_e32 v71, v71, v72
	v_fmac_f16_e32 v31, 0x38b4, v76
	v_add_f16_e32 v70, v74, v70
	v_fmac_f16_e32 v102, 0x34f2, v100
	v_fmac_f16_e32 v107, 0x34f2, v100
	;; [unrolled: 1-line block ×8, first 2 shown]
	s_waitcnt lgkmcnt(0)
	s_barrier
	buffer_gl0_inv
	ds_write_b16 v68, v95
	ds_write_b16 v68, v108 offset:18
	ds_write_b16 v68, v98 offset:36
	ds_write_b16 v68, v47 offset:54
	ds_write_b16 v68, v106 offset:72
	ds_write_b16 v67, v96
	ds_write_b16 v67, v102 offset:18
	ds_write_b16 v67, v97 offset:36
	ds_write_b16 v67, v62 offset:54
	ds_write_b16 v67, v107 offset:72
	;; [unrolled: 5-line block ×5, first 2 shown]
	s_waitcnt lgkmcnt(0)
	s_barrier
	buffer_gl0_inv
	ds_read_u16 v52, v17
	ds_read_u16 v79, v17 offset:450
	ds_read_u16 v73, v17 offset:576
	ds_read_u16 v72, v17 offset:1026
	ds_read_u16 v71, v17 offset:1476
	ds_read_u16 v70, v17 offset:1926
	ds_read_u16 v80, v17 offset:2700
	ds_read_u16 v66, v17 offset:2826
	ds_read_u16 v43, v19
	ds_read_u16 v81, v17 offset:1350
	ds_read_u16 v67, v17 offset:1152
	;; [unrolled: 1-line block ×10, first 2 shown]
	ds_read_u16 v47, v18
	ds_read_u16 v76, v17 offset:2952
                                        ; implicit-def: $vgpr65
	s_and_saveexec_b32 s1, s0
	s_cbranch_execz .LBB0_31
; %bb.30:
	ds_read_u16 v69, v17 offset:828
	ds_read_u16 v31, v17 offset:1278
	;; [unrolled: 1-line block ×5, first 2 shown]
	ds_read_u16 v34, v20
	ds_read_u16 v65, v17 offset:3078
.LBB0_31:
	s_or_b32 exec_lo, exec_lo, s1
	v_subrev_nc_u32_e32 v62, 45, v10
	v_cmp_gt_u32_e64 s1, 45, v10
	v_mov_b32_e32 v86, 0
	v_mul_lo_u16 v26, 0x6d, v26
	v_mul_lo_u16 v88, 0x6d, v25
	;; [unrolled: 1-line block ×3, first 2 shown]
	v_cndmask_b32_e64 v62, v62, v10, s1
	v_lshrrev_b16 v64, 8, v26
	v_lshrrev_b16 v24, 8, v24
	v_mul_i32_i24_e32 v85, 6, v62
	v_lshlrev_b32_e32 v62, 1, v62
	v_sub_nc_u16 v87, v23, v64
	v_lshlrev_b64 v[85:86], 2, v[85:86]
	v_add_co_u32 v85, s1, s8, v85
	v_add_co_ci_u32_e64 v86, s1, s9, v86, s1
	v_cmp_lt_u32_e64 s1, 44, v10
	s_clause 0x1
	global_load_dwordx4 v[96:99], v[85:86], off offset:168
	global_load_dwordx2 v[25:26], v[85:86], off offset:184
	v_lshrrev_b16 v85, 1, v87
	v_lshrrev_b16 v86, 8, v88
	v_and_b32_e32 v85, 0x7f, v85
	v_sub_nc_u16 v87, v7, v86
	v_add_nc_u16 v64, v85, v64
	v_lshrrev_b16 v85, 1, v87
	v_lshrrev_b16 v64, 5, v64
	v_and_b32_e32 v85, 0x7f, v85
	v_mul_lo_u16 v87, v64, 45
	v_add_nc_u16 v85, v85, v86
	v_mov_b32_e32 v86, 6
	v_sub_nc_u16 v23, v23, v87
	v_lshrrev_b16 v85, 5, v85
	v_mul_u32_u24_sdwa v87, v23, v86 dst_sel:DWORD dst_unused:UNUSED_PAD src0_sel:BYTE_0 src1_sel:DWORD
	v_mul_lo_u16 v88, v85, 45
	v_lshlrev_b32_e32 v87, 2, v87
	v_sub_nc_u16 v7, v7, v88
	v_sub_nc_u16 v88, v3, v24
	global_load_dwordx4 v[100:103], v87, s[8:9] offset:168
	v_mul_u32_u24_sdwa v86, v7, v86 dst_sel:DWORD dst_unused:UNUSED_PAD src0_sel:BYTE_0 src1_sel:DWORD
	v_lshrrev_b16 v88, 1, v88
	v_lshlrev_b32_e32 v86, 2, v86
	s_clause 0x1
	global_load_dwordx2 v[112:113], v87, s[8:9] offset:184
	global_load_dwordx4 v[104:107], v86, s[8:9] offset:168
	v_and_b32_e32 v87, 0x7f, v88
	global_load_dwordx2 v[114:115], v86, s[8:9] offset:184
	v_mov_b32_e32 v86, 1
	v_add_nc_u16 v24, v87, v24
	v_cndmask_b32_e64 v87, 0, 0x276, s1
	v_lshlrev_b32_sdwa v23, v86, v23 dst_sel:DWORD dst_unused:UNUSED_PAD src0_sel:DWORD src1_sel:BYTE_0
	v_lshlrev_b32_sdwa v7, v86, v7 dst_sel:DWORD dst_unused:UNUSED_PAD src0_sel:DWORD src1_sel:BYTE_0
	v_lshrrev_b16 v24, 5, v24
	v_mul_lo_u16 v24, v24, 45
	v_sub_nc_u16 v3, v3, v24
	v_and_b32_e32 v3, 0xff, v3
	v_mul_u32_u24_e32 v24, 6, v3
	v_lshl_add_u32 v3, v3, 1, 0
	v_lshlrev_b32_e32 v24, 2, v24
	s_clause 0x1
	global_load_dwordx4 v[108:111], v24, s[8:9] offset:168
	global_load_dwordx2 v[116:117], v24, s[8:9] offset:184
	v_mov_b32_e32 v24, 0x276
	s_waitcnt vmcnt(0) lgkmcnt(0)
	s_barrier
	buffer_gl0_inv
	v_mul_u32_u24_sdwa v88, v64, v24 dst_sel:DWORD dst_unused:UNUSED_PAD src0_sel:WORD_0 src1_sel:DWORD
	v_mul_u32_u24_sdwa v24, v85, v24 dst_sel:DWORD dst_unused:UNUSED_PAD src0_sel:WORD_0 src1_sel:DWORD
	v_add3_u32 v64, 0, v87, v62
	v_add3_u32 v62, 0, v88, v23
	;; [unrolled: 1-line block ×3, first 2 shown]
	v_mul_f16_sdwa v23, v79, v96 dst_sel:DWORD dst_unused:UNUSED_PAD src0_sel:DWORD src1_sel:WORD_1
	v_mul_f16_sdwa v86, v56, v96 dst_sel:DWORD dst_unused:UNUSED_PAD src0_sel:DWORD src1_sel:WORD_1
	;; [unrolled: 1-line block ×12, first 2 shown]
	v_fma_f16 v91, v56, v96, -v23
	v_fmac_f16_e32 v86, v79, v96
	v_fma_f16 v90, v59, v97, -v24
	v_fmac_f16_e32 v87, v83, v97
	;; [unrolled: 2-line block ×3, first 2 shown]
	v_fma_f16 v94, v61, v99, -v93
	v_fma_f16 v98, v57, v26, -v119
	;; [unrolled: 1-line block ×3, first 2 shown]
	v_fmac_f16_e32 v95, v80, v26
	v_fmac_f16_e32 v88, v84, v99
	;; [unrolled: 1-line block ×3, first 2 shown]
	v_add_f16_e32 v23, v91, v98
	v_add_f16_e32 v24, v90, v97
	v_sub_f16_e32 v25, v86, v95
	v_add_f16_e32 v26, v92, v94
	v_sub_f16_e32 v56, v87, v89
	v_sub_f16_e32 v57, v88, v85
	v_add_f16_e32 v58, v24, v23
	v_sub_f16_e32 v59, v24, v23
	v_sub_f16_e32 v24, v26, v24
	;; [unrolled: 1-line block ×3, first 2 shown]
	v_add_f16_e32 v60, v57, v56
	v_sub_f16_e32 v61, v57, v56
	v_sub_f16_e32 v56, v56, v25
	;; [unrolled: 1-line block ×3, first 2 shown]
	v_add_f16_e32 v58, v26, v58
	v_add_f16_e32 v60, v60, v25
	v_mul_f16_e32 v25, 0x2b26, v24
	v_mul_f16_e32 v26, 0xb846, v61
	;; [unrolled: 1-line block ×3, first 2 shown]
	v_add_f16_e32 v55, v55, v58
	v_mul_f16_sdwa v82, v48, v100 dst_sel:DWORD dst_unused:UNUSED_PAD src0_sel:DWORD src1_sel:WORD_1
	v_fma_f16 v119, v59, 0x39e0, -v25
	v_fmamk_f16 v120, v57, 0x3574, v26
	v_fma_f16 v121, v56, 0x3b00, -v26
	v_fma_f16 v122, v57, 0xb574, -v61
	v_mul_f16_sdwa v56, v73, v100 dst_sel:DWORD dst_unused:UNUSED_PAD src0_sel:DWORD src1_sel:WORD_1
	v_mul_f16_sdwa v57, v72, v101 dst_sel:DWORD dst_unused:UNUSED_PAD src0_sel:DWORD src1_sel:WORD_1
	;; [unrolled: 1-line block ×6, first 2 shown]
	v_mul_f16_e32 v23, 0x3a52, v23
	v_mul_f16_sdwa v83, v46, v101 dst_sel:DWORD dst_unused:UNUSED_PAD src0_sel:DWORD src1_sel:WORD_1
	v_mul_f16_sdwa v61, v71, v102 dst_sel:DWORD dst_unused:UNUSED_PAD src0_sel:DWORD src1_sel:WORD_1
	;; [unrolled: 1-line block ×12, first 2 shown]
	v_fmamk_f16 v58, v58, 0xbcab, v55
	v_fmac_f16_e32 v120, 0x370e, v60
	v_fmac_f16_e32 v121, 0x370e, v60
	;; [unrolled: 1-line block ×3, first 2 shown]
	ds_write_b16 v64, v55
	v_fma_f16 v99, v48, v100, -v56
	v_fmac_f16_e32 v82, v73, v100
	v_fma_f16 v48, v46, v101, -v57
	v_fmac_f16_e32 v84, v70, v103
	v_fma_f16 v70, v54, v112, -v124
	v_fma_f16 v73, v40, v113, -v125
	v_fmac_f16_e32 v25, v67, v105
	v_fmamk_f16 v118, v24, 0x2b26, v23
	v_fma_f16 v59, v59, 0xb9e0, -v23
	v_mul_f16_sdwa v24, v49, v104 dst_sel:DWORD dst_unused:UNUSED_PAD src0_sel:DWORD src1_sel:WORD_1
	v_mul_f16_sdwa v23, v53, v106 dst_sel:DWORD dst_unused:UNUSED_PAD src0_sel:DWORD src1_sel:WORD_1
	;; [unrolled: 1-line block ×5, first 2 shown]
	v_fmac_f16_e32 v83, v72, v101
	v_fma_f16 v72, v45, v102, -v61
	v_fmac_f16_e32 v81, v71, v102
	v_fma_f16 v71, v44, v103, -v123
	v_fmac_f16_e32 v93, v78, v112
	v_mul_f16_sdwa v55, v69, v108 dst_sel:DWORD dst_unused:UNUSED_PAD src0_sel:DWORD src1_sel:WORD_1
	v_mul_f16_sdwa v60, v31, v109 dst_sel:DWORD dst_unused:UNUSED_PAD src0_sel:DWORD src1_sel:WORD_1
	;; [unrolled: 1-line block ×4, first 2 shown]
	v_fmac_f16_e32 v96, v66, v113
	v_fma_f16 v44, v49, v104, -v126
	v_fma_f16 v40, v41, v105, -v127
	;; [unrolled: 1-line block ×4, first 2 shown]
	v_fmac_f16_e32 v79, v68, v114
	v_fma_f16 v46, v51, v115, -v131
	v_mul_f16_sdwa v51, v32, v109 dst_sel:DWORD dst_unused:UNUSED_PAD src0_sel:DWORD src1_sel:WORD_1
	v_mul_f16_sdwa v61, v63, v110 dst_sel:DWORD dst_unused:UNUSED_PAD src0_sel:DWORD src1_sel:WORD_1
	;; [unrolled: 1-line block ×5, first 2 shown]
	v_fma_f16 v57, v37, v108, -v55
	v_fma_f16 v55, v32, v109, -v60
	v_fma_f16 v60, v27, v116, -v67
	v_fmac_f16_e32 v54, v29, v116
	v_add_f16_e32 v27, v99, v73
	v_add_f16_e32 v29, v48, v70
	v_fmac_f16_e32 v24, v74, v104
	v_fmac_f16_e32 v23, v77, v106
	;; [unrolled: 1-line block ×4, first 2 shown]
	v_mul_f16_sdwa v49, v35, v110 dst_sel:DWORD dst_unused:UNUSED_PAD src0_sel:DWORD src1_sel:WORD_1
	v_fma_f16 v45, v50, v107, -v129
	v_mul_f16_sdwa v56, v39, v117 dst_sel:DWORD dst_unused:UNUSED_PAD src0_sel:DWORD src1_sel:WORD_1
	v_add_f16_e32 v74, v118, v58
	v_add_f16_e32 v75, v119, v58
	v_add_f16_e32 v76, v59, v58
	v_fmac_f16_e32 v51, v31, v109
	v_fma_f16 v58, v35, v110, -v61
	v_fma_f16 v59, v28, v111, -v66
	v_fmac_f16_e32 v53, v30, v111
	v_fma_f16 v61, v39, v117, -v68
	v_sub_f16_e32 v28, v82, v96
	v_sub_f16_e32 v30, v83, v93
	v_add_f16_e32 v31, v72, v71
	v_sub_f16_e32 v32, v84, v81
	v_add_f16_e32 v35, v44, v46
	v_add_f16_e32 v39, v40, v42
	v_add_f16_e32 v77, v29, v27
	v_mul_f16_sdwa v50, v37, v108 dst_sel:DWORD dst_unused:UNUSED_PAD src0_sel:DWORD src1_sel:WORD_1
	v_fmac_f16_e32 v49, v63, v110
	v_sub_f16_e32 v37, v24, v80
	v_sub_f16_e32 v63, v25, v79
	;; [unrolled: 1-line block ×3, first 2 shown]
	v_fmac_f16_e32 v56, v65, v117
	v_add_f16_e32 v65, v41, v45
	v_add_f16_e32 v67, v120, v74
	v_sub_f16_e32 v78, v29, v27
	v_sub_f16_e32 v27, v27, v31
	v_sub_f16_e32 v29, v31, v29
	v_add_f16_e32 v100, v32, v30
	v_sub_f16_e32 v101, v32, v30
	v_sub_f16_e32 v30, v30, v28
	v_add_f16_e32 v102, v39, v35
	v_add_f16_e32 v31, v31, v77
	v_add_f16_e32 v68, v122, v76
	v_fmac_f16_e32 v50, v69, v108
	v_sub_f16_e32 v69, v75, v121
	v_add_f16_e32 v104, v66, v63
	v_sub_f16_e32 v105, v66, v63
	v_sub_f16_e32 v63, v63, v37
	v_add_f16_e32 v75, v121, v75
	v_sub_f16_e32 v76, v76, v122
	v_sub_f16_e32 v74, v74, v120
	;; [unrolled: 1-line block ×6, first 2 shown]
	ds_write_b16 v64, v67 offset:90
	ds_write_b16 v64, v68 offset:180
	;; [unrolled: 1-line block ×6, first 2 shown]
	v_mul_f16_e32 v27, 0x3a52, v27
	v_mul_f16_e32 v68, 0xb846, v101
	;; [unrolled: 1-line block ×3, first 2 shown]
	v_add_f16_e32 v65, v65, v102
	v_add_f16_e32 v38, v38, v31
	v_sub_f16_e32 v66, v37, v66
	v_mul_f16_e32 v67, 0x2b26, v29
	v_mul_f16_e32 v75, 0xb846, v105
	;; [unrolled: 1-line block ×3, first 2 shown]
	v_add_f16_e32 v28, v100, v28
	v_mul_f16_e32 v35, 0x3a52, v35
	v_mul_f16_e32 v74, 0x2b26, v39
	v_fmamk_f16 v29, v29, 0x2b26, v27
	v_fmamk_f16 v77, v32, 0x3574, v68
	v_fma_f16 v30, v30, 0x3b00, -v68
	v_fma_f16 v32, v32, 0xb574, -v69
	v_add_f16_e32 v36, v36, v65
	v_fmamk_f16 v31, v31, 0xbcab, v38
	v_fma_f16 v27, v78, 0xb9e0, -v27
	v_add_f16_e32 v37, v104, v37
	v_fma_f16 v67, v78, 0x39e0, -v67
	v_fmamk_f16 v69, v66, 0x3574, v75
	v_fma_f16 v63, v63, 0x3b00, -v75
	v_fma_f16 v66, v66, 0xb574, -v76
	v_fmamk_f16 v39, v39, 0x2b26, v35
	v_fma_f16 v68, v103, 0x39e0, -v74
	v_fma_f16 v35, v103, 0xb9e0, -v35
	v_fmac_f16_e32 v77, 0x370e, v28
	v_fmac_f16_e32 v30, 0x370e, v28
	v_fmac_f16_e32 v32, 0x370e, v28
	v_fmamk_f16 v28, v65, 0xbcab, v36
	v_add_f16_e32 v29, v29, v31
	v_add_f16_e32 v27, v27, v31
	v_fmac_f16_e32 v69, 0x370e, v37
	v_fmac_f16_e32 v63, 0x370e, v37
	;; [unrolled: 1-line block ×3, first 2 shown]
	v_add_f16_e32 v37, v67, v31
	ds_write_b16 v62, v38
	v_add_f16_e32 v31, v39, v28
	v_add_f16_e32 v38, v68, v28
	;; [unrolled: 1-line block ×5, first 2 shown]
	v_sub_f16_e32 v65, v37, v30
	v_add_f16_e32 v30, v30, v37
	v_sub_f16_e32 v27, v27, v32
	v_sub_f16_e32 v29, v29, v77
	v_add_f16_e32 v32, v69, v31
	v_add_f16_e32 v37, v66, v28
	v_sub_f16_e32 v67, v38, v63
	v_add_f16_e32 v38, v63, v38
	v_sub_f16_e32 v28, v28, v66
	v_sub_f16_e32 v31, v31, v69
	ds_write_b16 v62, v35 offset:90
	ds_write_b16 v62, v39 offset:180
	;; [unrolled: 1-line block ×6, first 2 shown]
	ds_write_b16 v7, v36
	ds_write_b16 v7, v32 offset:90
	ds_write_b16 v7, v37 offset:180
	;; [unrolled: 1-line block ×6, first 2 shown]
	s_and_saveexec_b32 s1, s0
	s_cbranch_execz .LBB0_33
; %bb.32:
	v_add_f16_e32 v27, v57, v61
	v_add_f16_e32 v28, v55, v60
	;; [unrolled: 1-line block ×3, first 2 shown]
	v_sub_f16_e32 v31, v53, v49
	v_sub_f16_e32 v35, v51, v54
	;; [unrolled: 1-line block ×3, first 2 shown]
	v_add_f16_e32 v32, v28, v27
	v_sub_f16_e32 v36, v27, v29
	v_sub_f16_e32 v37, v29, v28
	;; [unrolled: 1-line block ×4, first 2 shown]
	v_add_f16_e32 v29, v29, v32
	v_sub_f16_e32 v32, v31, v35
	v_add_f16_e32 v31, v31, v35
	v_sub_f16_e32 v35, v35, v30
	v_mul_f16_e32 v28, 0x3a52, v36
	v_add_f16_e32 v33, v33, v29
	v_mul_f16_e32 v32, 0xb846, v32
	v_add_f16_e32 v30, v31, v30
	v_mul_f16_e32 v36, 0x3b00, v35
	v_fmamk_f16 v31, v37, 0x2b26, v28
	v_mul_f16_e32 v37, 0x2b26, v37
	v_fmamk_f16 v29, v29, 0xbcab, v33
	v_fmamk_f16 v39, v38, 0x3574, v32
	v_fma_f16 v28, v27, 0xb9e0, -v28
	v_fma_f16 v36, v38, 0xb574, -v36
	;; [unrolled: 1-line block ×4, first 2 shown]
	v_add_f16_e32 v31, v31, v29
	v_fmac_f16_e32 v39, 0x370e, v30
	v_add_f16_e32 v28, v28, v29
	v_fmac_f16_e32 v36, 0x370e, v30
	v_fmac_f16_e32 v32, 0x370e, v30
	v_add_f16_e32 v27, v27, v29
	v_sub_f16_e32 v29, v31, v39
	v_add_f16_e32 v31, v39, v31
	v_sub_f16_e32 v30, v28, v36
	;; [unrolled: 2-line block ×3, first 2 shown]
	v_add_f16_e32 v27, v32, v27
	ds_write_b16 v3, v33 offset:2520
	ds_write_b16 v3, v31 offset:2610
	;; [unrolled: 1-line block ×7, first 2 shown]
.LBB0_33:
	s_or_b32 exec_lo, exec_lo, s1
	v_add_f16_e32 v27, v86, v95
	v_add_f16_e32 v28, v87, v89
	v_sub_f16_e32 v29, v91, v98
	v_add_f16_e32 v30, v85, v88
	v_sub_f16_e32 v31, v90, v97
	v_sub_f16_e32 v32, v94, v92
	v_add_f16_e32 v33, v28, v27
	v_sub_f16_e32 v35, v28, v27
	v_sub_f16_e32 v27, v27, v30
	;; [unrolled: 1-line block ×3, first 2 shown]
	v_add_f16_e32 v36, v32, v31
	v_add_f16_e32 v30, v30, v33
	v_sub_f16_e32 v33, v32, v31
	v_sub_f16_e32 v31, v31, v29
	;; [unrolled: 1-line block ×3, first 2 shown]
	v_add_f16_e32 v29, v36, v29
	v_add_f16_e32 v52, v52, v30
	v_mul_f16_e32 v27, 0x3a52, v27
	v_mul_f16_e32 v36, 0x2b26, v28
	;; [unrolled: 1-line block ×4, first 2 shown]
	v_fmamk_f16 v30, v30, 0xbcab, v52
	v_fmamk_f16 v28, v28, 0x2b26, v27
	v_fma_f16 v36, v35, 0x39e0, -v36
	v_fma_f16 v27, v35, 0xb9e0, -v27
	v_fmamk_f16 v35, v32, 0x3574, v33
	v_fma_f16 v31, v31, 0x3b00, -v33
	v_fma_f16 v32, v32, 0xb574, -v37
	v_add_f16_e32 v28, v28, v30
	v_add_f16_e32 v33, v36, v30
	;; [unrolled: 1-line block ×3, first 2 shown]
	v_fmac_f16_e32 v35, 0x370e, v29
	v_fmac_f16_e32 v32, 0x370e, v29
	;; [unrolled: 1-line block ×3, first 2 shown]
	v_add_f16_e32 v29, v82, v96
	v_add_f16_e32 v30, v83, v93
	v_sub_f16_e32 v36, v48, v70
	v_sub_f16_e32 v37, v71, v72
	v_add_f16_e32 v66, v31, v33
	v_sub_f16_e32 v67, v33, v31
	v_sub_f16_e32 v31, v99, v73
	v_add_f16_e32 v33, v81, v84
	v_add_f16_e32 v38, v30, v29
	v_sub_f16_e32 v39, v30, v29
	v_add_f16_e32 v48, v37, v36
	v_add_f16_e32 v24, v24, v80
	v_sub_f16_e32 v29, v29, v33
	v_sub_f16_e32 v30, v33, v30
	v_add_f16_e32 v33, v33, v38
	v_sub_f16_e32 v38, v37, v36
	v_sub_f16_e32 v36, v36, v31
	;; [unrolled: 1-line block ×3, first 2 shown]
	v_add_f16_e32 v31, v48, v31
	v_add_f16_e32 v68, v47, v33
	v_mul_f16_e32 v29, 0x3a52, v29
	v_mul_f16_e32 v47, 0x2b26, v30
	;; [unrolled: 1-line block ×4, first 2 shown]
	v_add_f16_e32 v25, v25, v79
	v_fmamk_f16 v30, v30, 0x2b26, v29
	v_fma_f16 v47, v39, 0x39e0, -v47
	v_fma_f16 v29, v39, 0xb9e0, -v29
	v_fmamk_f16 v39, v37, 0x3574, v38
	v_fma_f16 v36, v36, 0x3b00, -v38
	v_fma_f16 v37, v37, 0xb574, -v48
	v_sub_f16_e32 v63, v28, v35
	v_sub_f16_e32 v65, v27, v32
	v_fmamk_f16 v33, v33, 0xbcab, v68
	v_fmac_f16_e32 v39, 0x370e, v31
	v_fmac_f16_e32 v37, 0x370e, v31
	;; [unrolled: 1-line block ×3, first 2 shown]
	v_add_f16_e32 v69, v32, v27
	v_add_f16_e32 v70, v35, v28
	v_sub_f16_e32 v27, v44, v46
	v_add_f16_e32 v23, v23, v26
	v_sub_f16_e32 v26, v40, v42
	v_sub_f16_e32 v28, v45, v41
	v_add_f16_e32 v31, v25, v24
	v_add_f16_e32 v30, v30, v33
	;; [unrolled: 1-line block ×4, first 2 shown]
	v_sub_f16_e32 v32, v25, v24
	v_sub_f16_e32 v24, v24, v23
	;; [unrolled: 1-line block ×3, first 2 shown]
	v_add_f16_e32 v33, v28, v26
	v_add_f16_e32 v23, v23, v31
	v_sub_f16_e32 v31, v28, v26
	v_sub_f16_e32 v26, v26, v27
	;; [unrolled: 1-line block ×3, first 2 shown]
	v_add_f16_e32 v27, v33, v27
	v_add_f16_e32 v75, v43, v23
	v_mul_f16_e32 v24, 0x3a52, v24
	v_mul_f16_e32 v33, 0x2b26, v25
	;; [unrolled: 1-line block ×4, first 2 shown]
	v_fmamk_f16 v23, v23, 0xbcab, v75
	v_fmamk_f16 v25, v25, 0x2b26, v24
	v_fma_f16 v33, v32, 0x39e0, -v33
	v_fma_f16 v24, v32, 0xb9e0, -v24
	v_fmamk_f16 v32, v28, 0x3574, v31
	v_fma_f16 v26, v26, 0x3b00, -v31
	v_fma_f16 v28, v28, 0xb574, -v35
	v_add_f16_e32 v25, v25, v23
	v_add_f16_e32 v31, v33, v23
	;; [unrolled: 1-line block ×3, first 2 shown]
	v_fmac_f16_e32 v32, 0x370e, v27
	v_fmac_f16_e32 v28, 0x370e, v27
	v_fmac_f16_e32 v26, 0x370e, v27
	v_sub_f16_e32 v71, v30, v39
	v_sub_f16_e32 v72, v29, v37
	v_add_f16_e32 v73, v36, v38
	v_sub_f16_e32 v74, v38, v36
	v_add_f16_e32 v76, v37, v29
	v_add_f16_e32 v77, v39, v30
	v_sub_f16_e32 v78, v25, v32
	v_sub_f16_e32 v79, v23, v28
	v_add_f16_e32 v80, v26, v31
	v_sub_f16_e32 v81, v31, v26
	v_add_f16_e32 v82, v28, v23
	v_add_f16_e32 v83, v32, v25
	s_waitcnt lgkmcnt(0)
	s_barrier
	buffer_gl0_inv
	ds_read_u16 v24, v21
	ds_read_u16 v31, v17 offset:1386
	ds_read_u16 v37, v17 offset:1512
	ds_read_u16 v23, v17
	ds_read_u16 v32, v17 offset:756
	ds_read_u16 v38, v17 offset:882
	;; [unrolled: 1-line block ×10, first 2 shown]
	ds_read_u16 v28, v19
	ds_read_u16 v30, v20
	;; [unrolled: 1-line block ×3, first 2 shown]
	ds_read_u16 v25, v17 offset:1260
	ds_read_u16 v46, v17 offset:1134
	;; [unrolled: 1-line block ×6, first 2 shown]
	ds_read_u16 v29, v18
	ds_read_u16 v48, v17 offset:3024
	s_waitcnt lgkmcnt(0)
	s_barrier
	buffer_gl0_inv
	ds_write_b16 v64, v52
	ds_write_b16 v64, v63 offset:90
	ds_write_b16 v64, v65 offset:180
	ds_write_b16 v64, v66 offset:270
	ds_write_b16 v64, v67 offset:360
	ds_write_b16 v64, v69 offset:450
	ds_write_b16 v64, v70 offset:540
	ds_write_b16 v62, v68
	ds_write_b16 v62, v71 offset:90
	ds_write_b16 v62, v72 offset:180
	ds_write_b16 v62, v73 offset:270
	ds_write_b16 v62, v74 offset:360
	ds_write_b16 v62, v76 offset:450
	ds_write_b16 v62, v77 offset:540
	ds_write_b16 v7, v75
	ds_write_b16 v7, v78 offset:90
	ds_write_b16 v7, v79 offset:180
	ds_write_b16 v7, v80 offset:270
	ds_write_b16 v7, v81 offset:360
	ds_write_b16 v7, v82 offset:450
	ds_write_b16 v7, v83 offset:540
	s_and_saveexec_b32 s1, s0
	s_cbranch_execz .LBB0_35
; %bb.34:
	v_add_f16_e32 v7, v50, v56
	v_add_f16_e32 v50, v51, v54
	;; [unrolled: 1-line block ×3, first 2 shown]
	v_sub_f16_e32 v52, v55, v60
	v_sub_f16_e32 v53, v59, v58
	;; [unrolled: 1-line block ×3, first 2 shown]
	v_add_f16_e32 v54, v50, v7
	v_sub_f16_e32 v55, v50, v7
	v_sub_f16_e32 v7, v7, v49
	;; [unrolled: 1-line block ×3, first 2 shown]
	v_add_f16_e32 v56, v53, v52
	v_add_f16_e32 v49, v49, v54
	v_sub_f16_e32 v54, v53, v52
	v_sub_f16_e32 v52, v52, v51
	;; [unrolled: 1-line block ×3, first 2 shown]
	v_add_f16_e32 v51, v56, v51
	v_add_f16_e32 v34, v34, v49
	v_mul_f16_e32 v7, 0x3a52, v7
	v_mul_f16_e32 v56, 0x2b26, v50
	;; [unrolled: 1-line block ×4, first 2 shown]
	v_fmamk_f16 v49, v49, 0xbcab, v34
	v_fmamk_f16 v50, v50, 0x2b26, v7
	v_fma_f16 v56, v55, 0x39e0, -v56
	v_fma_f16 v7, v55, 0xb9e0, -v7
	v_fmamk_f16 v55, v53, 0x3574, v54
	v_fma_f16 v53, v53, 0xb574, -v57
	v_fma_f16 v52, v52, 0x3b00, -v54
	v_add_f16_e32 v50, v50, v49
	v_add_f16_e32 v7, v7, v49
	v_fmac_f16_e32 v55, 0x370e, v51
	v_fmac_f16_e32 v53, 0x370e, v51
	v_add_f16_e32 v54, v56, v49
	v_fmac_f16_e32 v52, 0x370e, v51
	v_sub_f16_e32 v49, v50, v55
	v_sub_f16_e32 v51, v7, v53
	v_add_f16_e32 v7, v53, v7
	v_add_f16_e32 v56, v52, v54
	v_sub_f16_e32 v52, v54, v52
	v_add_f16_e32 v50, v55, v50
	ds_write_b16 v3, v34 offset:2520
	ds_write_b16 v3, v49 offset:2610
	ds_write_b16 v3, v51 offset:2700
	ds_write_b16 v3, v56 offset:2790
	ds_write_b16 v3, v52 offset:2880
	ds_write_b16 v3, v7 offset:2970
	ds_write_b16 v3, v50 offset:3060
.LBB0_35:
	s_or_b32 exec_lo, exec_lo, s1
	s_waitcnt lgkmcnt(0)
	s_barrier
	buffer_gl0_inv
	s_and_saveexec_b32 s0, vcc_lo
	s_cbranch_execz .LBB0_37
; %bb.36:
	v_mov_b32_e32 v3, 0
	v_mov_b32_e32 v7, v3
	v_lshlrev_b64 v[49:50], 2, v[2:3]
	v_lshlrev_b32_e32 v2, 2, v10
	v_lshlrev_b64 v[53:54], 2, v[6:7]
	v_mov_b32_e32 v6, v3
	v_add_co_u32 v49, vcc_lo, s8, v49
	v_add_co_ci_u32_e32 v50, vcc_lo, s9, v50, vcc_lo
	v_lshlrev_b64 v[6:7], 2, v[5:6]
	v_mov_b32_e32 v5, v3
	v_add_co_u32 v53, vcc_lo, s8, v53
	v_add_co_ci_u32_e32 v54, vcc_lo, s9, v54, vcc_lo
	v_lshlrev_b64 v[57:58], 2, v[4:5]
	v_add_co_u32 v6, vcc_lo, s8, v6
	v_lshlrev_b64 v[2:3], 2, v[2:3]
	v_add_co_ci_u32_e32 v7, vcc_lo, s9, v7, vcc_lo
	s_clause 0x1
	global_load_dwordx4 v[49:52], v[49:50], off offset:1248
	global_load_dwordx4 v[53:56], v[53:54], off offset:1248
	v_add_co_u32 v57, vcc_lo, s8, v57
	v_add_co_ci_u32_e32 v58, vcc_lo, s9, v58, vcc_lo
	v_add_co_u32 v2, vcc_lo, s8, v2
	global_load_dwordx4 v[4:7], v[6:7], off offset:1248
	v_add_co_ci_u32_e32 v3, vcc_lo, s9, v3, vcc_lo
	s_clause 0x1
	global_load_dwordx4 v[57:60], v[57:58], off offset:1248
	global_load_dwordx4 v[61:64], v[2:3], off offset:1248
	ds_read_u16 v2, v17 offset:1764
	ds_read_u16 v3, v17 offset:1134
	;; [unrolled: 1-line block ×10, first 2 shown]
	ds_read_u16 v22, v22
	ds_read_u16 v20, v20
	;; [unrolled: 1-line block ×4, first 2 shown]
	ds_read_u16 v19, v17 offset:2898
	ds_read_u16 v73, v17 offset:2772
	;; [unrolled: 1-line block ×3, first 2 shown]
	ds_read_u16 v21, v21
	ds_read_u16 v75, v17 offset:1512
	ds_read_u16 v76, v17 offset:1386
	;; [unrolled: 1-line block ×6, first 2 shown]
	ds_read_u16 v89, v17
	s_waitcnt vmcnt(4)
	v_lshrrev_b32_e32 v78, 16, v49
	v_lshrrev_b32_e32 v79, 16, v50
	;; [unrolled: 1-line block ×4, first 2 shown]
	s_waitcnt lgkmcnt(24)
	v_mul_f16_e32 v82, v50, v2
	s_waitcnt lgkmcnt(23)
	v_mul_f16_e32 v84, v49, v3
	;; [unrolled: 2-line block ×3, first 2 shown]
	v_mul_f16_e32 v86, v52, v34
	v_mul_f16_e32 v3, v78, v3
	v_fmac_f16_e32 v82, v47, v79
	v_fmac_f16_e32 v84, v46, v78
	;; [unrolled: 1-line block ×4, first 2 shown]
	v_mul_f16_e32 v17, v81, v34
	v_mul_f16_e32 v2, v79, v2
	;; [unrolled: 1-line block ×3, first 2 shown]
	s_waitcnt vmcnt(3)
	v_lshrrev_b32_e32 v66, 16, v53
	v_lshrrev_b32_e32 v78, 16, v54
	;; [unrolled: 1-line block ×4, first 2 shown]
	s_waitcnt lgkmcnt(3)
	v_mul_f16_e32 v90, v53, v83
	v_mul_f16_e32 v92, v56, v19
	s_waitcnt vmcnt(2)
	v_lshrrev_b32_e32 v93, 16, v4
	v_lshrrev_b32_e32 v94, 16, v5
	;; [unrolled: 1-line block ×4, first 2 shown]
	s_waitcnt lgkmcnt(2)
	v_mul_f16_e32 v97, v4, v87
	v_mul_f16_e32 v98, v5, v75
	;; [unrolled: 1-line block ×6, first 2 shown]
	s_waitcnt vmcnt(1)
	v_lshrrev_b32_e32 v101, 16, v57
	v_lshrrev_b32_e32 v102, 16, v58
	;; [unrolled: 1-line block ×3, first 2 shown]
	s_waitcnt lgkmcnt(1)
	v_mul_f16_e32 v105, v57, v88
	s_waitcnt vmcnt(0)
	v_lshrrev_b32_e32 v109, 16, v61
	v_fma_f16 v46, v46, v49, -v3
	v_fma_f16 v48, v48, v52, -v17
	v_add_f16_e32 v3, v84, v86
	v_fma_f16 v17, v47, v50, -v2
	v_fma_f16 v45, v45, v51, -v34
	v_sub_f16_e32 v2, v84, v82
	v_sub_f16_e32 v34, v86, v85
	v_add_f16_e32 v50, v82, v85
	v_add_f16_e32 v51, v84, v22
	v_fmac_f16_e32 v90, v42, v66
	v_fmac_f16_e32 v92, v44, v80
	v_mul_f16_e32 v52, v66, v83
	v_mul_f16_e32 v19, v80, v19
	;; [unrolled: 1-line block ×4, first 2 shown]
	v_fmac_f16_e32 v97, v38, v93
	v_fmac_f16_e32 v98, v37, v94
	v_fmac_f16_e32 v99, v40, v96
	v_fmac_f16_e32 v100, v39, v95
	v_mul_f16_e32 v71, v94, v75
	v_mul_f16_e32 v68, v95, v68
	;; [unrolled: 1-line block ×3, first 2 shown]
	v_lshrrev_b32_e32 v103, 16, v59
	v_mul_f16_e32 v106, v58, v76
	v_mul_f16_e32 v107, v60, v74
	;; [unrolled: 1-line block ×4, first 2 shown]
	v_sub_f16_e32 v117, v82, v84
	v_sub_f16_e32 v49, v84, v86
	v_fmac_f16_e32 v81, v41, v78
	v_fmac_f16_e32 v91, v43, v79
	v_mul_f16_e32 v73, v96, v73
	v_fmac_f16_e32 v105, v32, v101
	v_mul_f16_e32 v76, v102, v76
	v_mul_f16_e32 v78, v101, v88
	;; [unrolled: 1-line block ×4, first 2 shown]
	v_fma_f16 v3, -0.5, v3, v22
	v_sub_f16_e32 v84, v17, v45
	v_sub_f16_e32 v21, v17, v46
	;; [unrolled: 1-line block ×3, first 2 shown]
	v_add_f16_e32 v88, v46, v48
	v_add_f16_e32 v93, v2, v34
	v_fma_f16 v2, -0.5, v50, v22
	v_sub_f16_e32 v22, v46, v17
	v_sub_f16_e32 v34, v48, v45
	v_add_f16_e32 v51, v82, v51
	v_fma_f16 v44, v44, v56, -v19
	v_add_f16_e32 v19, v90, v92
	v_fma_f16 v41, v41, v54, -v66
	v_fma_f16 v43, v43, v55, -v67
	v_sub_f16_e32 v67, v97, v98
	v_fma_f16 v37, v37, v5, -v71
	v_fma_f16 v39, v39, v6, -v68
	;; [unrolled: 1-line block ×3, first 2 shown]
	v_add_f16_e32 v68, v98, v100
	v_sub_f16_e32 v71, v97, v99
	v_sub_f16_e32 v75, v98, v97
	v_add_f16_e32 v96, v97, v99
	v_add_f16_e32 v97, v97, v72
	v_sub_f16_e32 v118, v85, v86
	v_sub_f16_e32 v47, v82, v85
	v_fmac_f16_e32 v106, v31, v102
	v_fmac_f16_e32 v107, v36, v104
	;; [unrolled: 1-line block ×3, first 2 shown]
	v_mul_f16_e32 v69, v103, v69
	v_sub_f16_e32 v83, v46, v48
	v_add_f16_e32 v50, v17, v45
	v_add_f16_e32 v46, v33, v46
	v_sub_f16_e32 v82, v81, v90
	v_sub_f16_e32 v94, v91, v92
	v_fma_f16 v42, v42, v53, -v52
	v_fma_f16 v40, v40, v7, -v73
	v_sub_f16_e32 v73, v98, v100
	v_fma_f16 v58, v31, v58, -v76
	v_fma_f16 v31, v32, v57, -v78
	;; [unrolled: 1-line block ×3, first 2 shown]
	v_add_f16_e32 v78, v105, v18
	v_fmamk_f16 v4, v84, 0xbb9c, v3
	v_add_f16_e32 v87, v21, v87
	v_fma_f16 v6, -0.5, v88, v33
	v_fmac_f16_e32 v3, 0x3b9c, v84
	v_add_f16_e32 v88, v22, v34
	v_add_f16_e32 v22, v85, v51
	v_fma_f16 v21, -0.5, v19, v20
	v_sub_f16_e32 v51, v41, v43
	v_fma_f16 v36, -0.5, v68, v72
	v_fma_f16 v34, -0.5, v96, v72
	v_add_f16_e32 v72, v98, v97
	v_add_f16_e32 v98, v28, v38
	v_sub_f16_e32 v54, v90, v81
	v_sub_f16_e32 v55, v92, v91
	v_add_f16_e32 v56, v81, v91
	v_add_f16_e32 v66, v90, v20
	v_lshrrev_b32_e32 v112, 16, v64
	v_mul_f16_e32 v115, v64, v65
	v_fmac_f16_e32 v113, v24, v109
	v_add_f16_e32 v80, v117, v118
	v_sub_f16_e32 v95, v100, v99
	v_sub_f16_e32 v101, v105, v106
	v_fma_f16 v59, v35, v59, -v69
	v_add_f16_e32 v32, v106, v108
	v_sub_f16_e32 v69, v106, v108
	v_sub_f16_e32 v35, v106, v105
	v_fmamk_f16 v7, v83, 0xbb9c, v2
	v_fma_f16 v5, -0.5, v50, v33
	v_fmac_f16_e32 v2, 0x3b9c, v83
	v_add_f16_e32 v33, v17, v46
	v_add_f16_e32 v46, v82, v94
	v_sub_f16_e32 v50, v42, v44
	v_add_f16_e32 v94, v42, v44
	v_add_f16_e32 v103, v41, v43
	v_sub_f16_e32 v109, v31, v57
	v_sub_f16_e32 v117, v31, v58
	;; [unrolled: 1-line block ×3, first 2 shown]
	v_add_f16_e32 v122, v31, v57
	v_add_f16_e32 v78, v106, v78
	;; [unrolled: 1-line block ×3, first 2 shown]
	v_fmac_f16_e32 v4, 0x38b4, v83
	v_fmac_f16_e32 v3, 0xb8b4, v83
	v_fmamk_f16 v31, v51, 0xbb9c, v21
	v_fmac_f16_e32 v21, 0x3b9c, v51
	v_add_f16_e32 v83, v98, v37
	v_sub_f16_e32 v60, v105, v107
	v_add_f16_e32 v76, v105, v107
	v_add_f16_e32 v54, v54, v55
	v_fma_f16 v19, -0.5, v56, v20
	v_sub_f16_e32 v55, v42, v41
	v_sub_f16_e32 v56, v44, v43
	v_add_f16_e32 v66, v81, v66
	v_add_f16_e32 v105, v37, v39
	v_sub_f16_e32 v82, v41, v42
	v_add_f16_e32 v42, v30, v42
	v_lshrrev_b32_e32 v110, 16, v62
	v_lshrrev_b32_e32 v111, 16, v63
	v_fmac_f16_e32 v115, v27, v112
	v_mul_f16_e32 v65, v112, v65
	v_sub_f16_e32 v52, v81, v91
	v_sub_f16_e32 v53, v90, v92
	;; [unrolled: 1-line block ×6, first 2 shown]
	v_add_f16_e32 v75, v75, v95
	v_sub_f16_e32 v95, v37, v38
	v_sub_f16_e32 v96, v39, v40
	v_fma_f16 v112, -0.5, v32, v18
	v_add_f16_e32 v119, v58, v59
	v_fma_f16 v32, -0.5, v94, v30
	v_fma_f16 v30, -0.5, v103, v30
	v_fmac_f16_e32 v31, 0x38b4, v50
	v_fmac_f16_e32 v21, 0xb8b4, v50
	v_add_f16_e32 v39, v83, v39
	v_fma_f16 v76, -0.5, v76, v18
	v_fmamk_f16 v18, v49, 0x3b9c, v5
	v_fmac_f16_e32 v5, 0xbb9c, v49
	v_add_f16_e32 v55, v55, v56
	v_add_f16_e32 v56, v91, v66
	v_fma_f16 v66, -0.5, v105, v28
	v_mul_f16_e32 v114, v62, v77
	v_mul_f16_e32 v116, v63, v70
	v_sub_f16_e32 v102, v107, v108
	v_sub_f16_e32 v85, v43, v44
	v_add_f16_e32 v97, v38, v40
	v_add_f16_e32 v41, v41, v42
	v_add_f16_e32 v67, v67, v90
	v_sub_f16_e32 v90, v38, v40
	v_add_f16_e32 v20, v86, v22
	v_add_f16_e32 v42, v68, v104
	;; [unrolled: 1-line block ×4, first 2 shown]
	v_fma_f16 v86, -0.5, v119, v29
	v_fma_f16 v95, -0.5, v122, v29
	v_fmamk_f16 v29, v53, 0x3b9c, v30
	v_fmac_f16_e32 v30, 0xbb9c, v53
	v_fmac_f16_e32 v31, 0x34f2, v46
	;; [unrolled: 1-line block ×3, first 2 shown]
	v_add_f16_e32 v46, v40, v39
	v_mul_f16_e32 v39, v110, v77
	v_mul_f16_e32 v40, v111, v70
	v_fmamk_f16 v17, v47, 0x3b9c, v6
	v_fmac_f16_e32 v6, 0xbb9c, v47
	v_fmac_f16_e32 v18, 0x38b4, v47
	;; [unrolled: 1-line block ×3, first 2 shown]
	v_fmamk_f16 v47, v71, 0xbb9c, v66
	v_fmac_f16_e32 v66, 0x3b9c, v71
	v_add_f16_e32 v22, v33, v45
	v_fmamk_f16 v33, v50, 0xbb9c, v19
	v_fmac_f16_e32 v19, 0x3b9c, v50
	v_fmac_f16_e32 v114, v25, v110
	;; [unrolled: 1-line block ×3, first 2 shown]
	v_add_f16_e32 v101, v101, v102
	v_sub_f16_e32 v102, v58, v59
	v_add_f16_e32 v45, v82, v85
	v_fma_f16 v82, -0.5, v97, v28
	v_add_f16_e32 v58, v106, v58
	v_fmamk_f16 v28, v52, 0x3b9c, v32
	v_add_f16_e32 v41, v41, v43
	v_fmac_f16_e32 v32, 0xbb9c, v52
	v_fmac_f16_e32 v29, 0x38b4, v52
	;; [unrolled: 1-line block ×3, first 2 shown]
	v_fma_f16 v24, v24, v61, -v79
	v_fma_f16 v27, v27, v64, -v65
	;; [unrolled: 1-line block ×4, first 2 shown]
	v_fmac_f16_e32 v47, 0xb8b4, v73
	v_fmac_f16_e32 v66, 0x38b4, v73
	;; [unrolled: 1-line block ×4, first 2 shown]
	v_fmamk_f16 v51, v69, 0x3b9c, v95
	v_fmac_f16_e32 v95, 0xbb9c, v69
	v_add_f16_e32 v43, v58, v59
	v_fmac_f16_e32 v28, 0xb8b4, v53
	v_add_f16_e32 v58, v41, v44
	;; [unrolled: 2-line block ×3, first 2 shown]
	v_fmac_f16_e32 v29, 0x34f2, v55
	v_fmac_f16_e32 v30, 0x34f2, v55
	v_sub_f16_e32 v44, v24, v25
	v_sub_f16_e32 v55, v27, v26
	v_add_f16_e32 v61, v24, v27
	v_add_f16_e32 v65, v23, v24
	v_fmac_f16_e32 v47, 0x34f2, v42
	v_fmac_f16_e32 v66, 0x34f2, v42
	v_add_f16_e32 v42, v25, v26
	v_fmamk_f16 v50, v60, 0xbb9c, v86
	v_fmac_f16_e32 v86, 0x3b9c, v60
	v_fmac_f16_e32 v51, 0xb8b4, v60
	;; [unrolled: 1-line block ×3, first 2 shown]
	v_sub_f16_e32 v60, v114, v113
	v_sub_f16_e32 v62, v116, v115
	v_fmac_f16_e32 v28, 0x34f2, v45
	v_fmac_f16_e32 v32, 0x34f2, v45
	v_sub_f16_e32 v39, v113, v114
	s_waitcnt lgkmcnt(0)
	v_fma_f16 v45, -0.5, v41, v89
	v_sub_f16_e32 v41, v115, v116
	v_add_f16_e32 v52, v57, v43
	v_sub_f16_e32 v43, v25, v26
	v_add_f16_e32 v44, v44, v55
	v_fma_f16 v55, -0.5, v61, v23
	v_sub_f16_e32 v61, v25, v24
	v_add_f16_e32 v25, v65, v25
	v_fmac_f16_e32 v33, 0x34f2, v54
	v_fmac_f16_e32 v19, 0x34f2, v54
	v_sub_f16_e32 v40, v24, v27
	v_fma_f16 v54, -0.5, v42, v23
	v_mad_u64_u32 v[23:24], null, s2, v10, 0
	v_add_f16_e32 v60, v60, v62
	v_sub_f16_e32 v62, v26, v27
	v_add_f16_e32 v39, v39, v41
	v_sub_f16_e32 v41, v113, v115
	v_add_f16_e32 v42, v113, v115
	v_add_f16_e32 v26, v25, v26
	v_fmamk_f16 v53, v40, 0x3b9c, v45
	v_add_f16_e32 v61, v61, v62
	v_fmac_f16_e32 v45, 0xbb9c, v40
	v_add_f16_e32 v62, v113, v89
	v_sub_f16_e32 v118, v57, v59
	v_sub_f16_e32 v121, v59, v57
	v_fmamk_f16 v57, v41, 0xbb9c, v54
	v_fma_f16 v59, -0.5, v42, v89
	v_sub_f16_e32 v42, v114, v116
	v_fmac_f16_e32 v54, 0x3b9c, v41
	v_mad_u64_u32 v[24:25], null, s3, v10, v[24:25]
	v_add_f16_e32 v27, v27, v26
	v_mad_u64_u32 v[25:26], null, s2, v15, 0
	v_fmac_f16_e32 v53, 0x38b4, v43
	v_fmac_f16_e32 v45, 0xb8b4, v43
	v_add_f16_e32 v62, v114, v62
	v_fmac_f16_e32 v57, 0xb8b4, v42
	v_fmac_f16_e32 v54, 0x38b4, v42
	v_fmac_f16_e32 v53, 0x34f2, v39
	v_fmac_f16_e32 v45, 0x34f2, v39
	v_add_f16_e32 v39, v116, v62
	v_add_co_u32 v62, vcc_lo, s12, v0
	v_mov_b32_e32 v0, v26
	v_fmamk_f16 v63, v43, 0x3b9c, v59
	v_fmac_f16_e32 v57, 0x34f2, v44
	v_fmac_f16_e32 v54, 0x34f2, v44
	;; [unrolled: 1-line block ×3, first 2 shown]
	v_add_nc_u32_e32 v44, 0x276, v10
	v_fmamk_f16 v64, v42, 0xbb9c, v55
	v_fmac_f16_e32 v55, 0x3b9c, v42
	v_add_co_ci_u32_e32 v65, vcc_lo, s13, v1, vcc_lo
	v_mad_u64_u32 v[0:1], null, s3, v15, v[0:1]
	v_add_nc_u32_e32 v15, 0x3b1, v10
	v_fmac_f16_e32 v63, 0xb8b4, v40
	v_add_f16_e32 v43, v115, v39
	v_fmac_f16_e32 v59, 0x38b4, v40
	v_mad_u64_u32 v[39:40], null, s2, v44, 0
	v_fmac_f16_e32 v2, 0x38b4, v84
	v_fmac_f16_e32 v64, 0x38b4, v41
	;; [unrolled: 1-line block ×3, first 2 shown]
	v_lshlrev_b64 v[23:24], 2, v[23:24]
	v_mad_u64_u32 v[41:42], null, s2, v15, 0
	v_fmac_f16_e32 v2, 0x34f2, v93
	v_mov_b32_e32 v1, v40
	v_fmac_f16_e32 v63, 0x34f2, v60
	v_add_co_u32 v23, vcc_lo, v62, v23
	v_add_co_ci_u32_e32 v24, vcc_lo, v65, v24, vcc_lo
	v_pack_b32_f16 v27, v27, v43
	v_mov_b32_e32 v26, v0
	v_fmac_f16_e32 v59, 0x34f2, v60
	v_mov_b32_e32 v0, v42
	v_add_nc_u32_e32 v60, 0x4ec, v10
	v_mad_u64_u32 v[43:44], null, s3, v44, v[1:2]
	global_store_dword v[23:24], v27, off
	v_lshlrev_b64 v[23:24], 2, v[25:26]
	v_mad_u64_u32 v[0:1], null, s3, v15, v[0:1]
	v_mad_u64_u32 v[25:26], null, s2, v60, 0
	v_mov_b32_e32 v40, v43
	v_mad_u64_u32 v[43:44], null, s2, v14, 0
	v_fmac_f16_e32 v64, 0x34f2, v61
	v_mov_b32_e32 v42, v0
	v_lshlrev_b64 v[39:40], 2, v[39:40]
	v_mov_b32_e32 v0, v26
	v_add_co_u32 v23, vcc_lo, v62, v23
	v_add_co_ci_u32_e32 v24, vcc_lo, v65, v24, vcc_lo
	v_mad_u64_u32 v[0:1], null, s3, v60, v[0:1]
	v_add_co_u32 v39, vcc_lo, v62, v39
	v_lshlrev_b64 v[26:27], 2, v[41:42]
	v_mad_u64_u32 v[41:42], null, s2, v13, 0
	v_pack_b32_f16 v54, v54, v45
	v_fmac_f16_e32 v55, 0x34f2, v61
	v_add_co_ci_u32_e32 v40, vcc_lo, v65, v40, vcc_lo
	v_pack_b32_f16 v61, v64, v63
	v_mov_b32_e32 v1, v44
	v_add_co_u32 v44, vcc_lo, v62, v26
	v_mov_b32_e32 v26, v0
	global_store_dword v[23:24], v54, off
	global_store_dword v[39:40], v61, off
	v_add_nc_u32_e32 v39, 0x2b5, v10
	v_add_co_ci_u32_e32 v45, vcc_lo, v65, v27, vcc_lo
	v_mad_u64_u32 v[14:15], null, s3, v14, v[1:2]
	v_pack_b32_f16 v1, v55, v59
	v_mov_b32_e32 v0, v42
	v_lshlrev_b64 v[23:24], 2, v[25:26]
	v_mad_u64_u32 v[25:26], null, s2, v39, 0
	global_store_dword v[44:45], v1, off
	v_mad_u64_u32 v[0:1], null, s3, v13, v[0:1]
	v_mov_b32_e32 v44, v14
	v_add_co_u32 v13, vcc_lo, v62, v23
	v_mov_b32_e32 v15, v26
	v_add_f16_e32 v78, v108, v78
	v_add_co_ci_u32_e32 v14, vcc_lo, v65, v24, vcc_lo
	v_mov_b32_e32 v42, v0
	v_lshlrev_b64 v[23:24], 2, v[43:44]
	v_mad_u64_u32 v[39:40], null, s3, v39, v[15:16]
	v_add_nc_u32_e32 v54, 0x52b, v10
	v_lshlrev_b64 v[26:27], 2, v[41:42]
	v_add_f16_e32 v37, v92, v56
	v_add_f16_e32 v56, v107, v78
	v_add_co_u32 v23, vcc_lo, v62, v23
	v_mad_u64_u32 v[40:41], null, s2, v54, 0
	v_add_nc_u32_e32 v44, 0x3f0, v10
	v_add_co_ci_u32_e32 v24, vcc_lo, v65, v24, vcc_lo
	v_fmac_f16_e32 v7, 0xb8b4, v84
	v_fmamk_f16 v84, v109, 0x3b9c, v112
	v_fmac_f16_e32 v112, 0xbb9c, v109
	v_pack_b32_f16 v53, v57, v53
	v_add_co_u32 v42, vcc_lo, v62, v26
	v_mov_b32_e32 v26, v39
	v_pack_b32_f16 v52, v52, v56
	v_mad_u64_u32 v[0:1], null, s2, v44, 0
	v_add_f16_e32 v85, v117, v118
	v_fmac_f16_e32 v112, 0xb8b4, v102
	v_fmac_f16_e32 v86, 0x38b4, v69
	global_store_dword v[13:14], v53, off
	global_store_dword v[23:24], v52, off
	v_lshlrev_b64 v[14:15], 2, v[25:26]
	v_mov_b32_e32 v13, v41
	v_fmac_f16_e32 v112, 0x34f2, v101
	v_fmac_f16_e32 v86, 0x34f2, v85
	v_mad_u64_u32 v[44:45], null, s3, v44, v[1:2]
	v_mad_u64_u32 v[23:24], null, s3, v54, v[13:14]
	;; [unrolled: 1-line block ×3, first 2 shown]
	v_add_co_ci_u32_e32 v43, vcc_lo, v65, v27, vcc_lo
	v_pack_b32_f16 v1, v86, v112
	v_add_co_u32 v13, vcc_lo, v62, v14
	v_sub_f16_e32 v74, v108, v107
	v_fmamk_f16 v91, v102, 0xbb9c, v76
	v_fmac_f16_e32 v76, 0x3b9c, v102
	global_store_dword v[42:43], v1, off
	v_mov_b32_e32 v1, v44
	v_add_co_ci_u32_e32 v14, vcc_lo, v65, v15, vcc_lo
	v_mov_b32_e32 v41, v23
	v_mov_b32_e32 v15, v25
	v_mad_u64_u32 v[26:27], null, s2, v8, 0
	v_add_f16_e32 v74, v35, v74
	v_add_f16_e32 v94, v120, v121
	v_fmac_f16_e32 v76, 0xb8b4, v109
	v_lshlrev_b64 v[0:1], 2, v[0:1]
	v_lshlrev_b64 v[39:40], 2, v[40:41]
	v_mad_u64_u32 v[41:42], null, s3, v12, v[15:16]
	v_fmac_f16_e32 v84, 0x38b4, v102
	v_fmac_f16_e32 v91, 0x38b4, v109
	;; [unrolled: 1-line block ×3, first 2 shown]
	v_mov_b32_e32 v12, v27
	v_fmac_f16_e32 v76, 0x34f2, v74
	v_fmac_f16_e32 v95, 0x34f2, v94
	;; [unrolled: 1-line block ×6, first 2 shown]
	v_add_co_u32 v0, vcc_lo, v62, v0
	v_add_co_ci_u32_e32 v1, vcc_lo, v65, v1, vcc_lo
	v_mov_b32_e32 v25, v41
	v_mad_u64_u32 v[41:42], null, s3, v8, v[12:13]
	v_pack_b32_f16 v43, v95, v76
	v_add_co_u32 v39, vcc_lo, v62, v39
	v_add_nc_u32_e32 v42, 0x2f4, v10
	v_pack_b32_f16 v15, v51, v91
	v_add_co_ci_u32_e32 v40, vcc_lo, v65, v40, vcc_lo
	v_pack_b32_f16 v23, v50, v84
	global_store_dword v[13:14], v43, off
	v_mad_u64_u32 v[12:13], null, s2, v42, 0
	global_store_dword v[0:1], v15, off
	global_store_dword v[39:40], v23, off
	v_add_nc_u32_e32 v39, 0x42f, v10
	v_mov_b32_e32 v27, v41
	v_lshlrev_b64 v[0:1], 2, v[24:25]
	v_fmamk_f16 v35, v90, 0x3b9c, v36
	v_fmac_f16_e32 v36, 0xbb9c, v90
	v_mad_u64_u32 v[23:24], null, s2, v39, 0
	v_mov_b32_e32 v8, v13
	v_lshlrev_b64 v[13:14], 2, v[26:27]
	v_fmac_f16_e32 v36, 0xb8b4, v81
	v_add_co_u32 v0, vcc_lo, v62, v0
	v_mad_u64_u32 v[25:26], null, s3, v42, v[8:9]
	v_add_nc_u32_e32 v42, 0x56a, v10
	v_add_co_ci_u32_e32 v1, vcc_lo, v65, v1, vcc_lo
	v_mov_b32_e32 v8, v24
	v_add_f16_e32 v22, v22, v48
	v_add_f16_e32 v48, v99, v68
	v_add_co_u32 v26, vcc_lo, v62, v13
	v_fmac_f16_e32 v36, 0x34f2, v67
	v_add_co_ci_u32_e32 v27, vcc_lo, v65, v14, vcc_lo
	v_mad_u64_u32 v[14:15], null, s2, v42, 0
	v_mad_u64_u32 v[39:40], null, s3, v39, v[8:9]
	v_pack_b32_f16 v43, v46, v48
	v_pack_b32_f16 v24, v66, v36
	v_mad_u64_u32 v[40:41], null, s2, v11, 0
	v_mov_b32_e32 v13, v25
	global_store_dword v[0:1], v43, off
	v_mov_b32_e32 v0, v15
	global_store_dword v[26:27], v24, off
	v_mov_b32_e32 v24, v39
	v_lshlrev_b64 v[12:13], 2, v[12:13]
	v_fmamk_f16 v38, v81, 0xbb9c, v34
	v_mad_u64_u32 v[0:1], null, s3, v42, v[0:1]
	v_mov_b32_e32 v1, v41
	v_lshlrev_b64 v[23:24], 2, v[23:24]
	v_fmac_f16_e32 v34, 0x3b9c, v81
	v_fmac_f16_e32 v17, 0xb8b4, v49
	;; [unrolled: 1-line block ×3, first 2 shown]
	v_fmamk_f16 v49, v73, 0x3b9c, v82
	v_fmac_f16_e32 v82, 0xbb9c, v73
	v_add_co_u32 v12, vcc_lo, v62, v12
	v_mad_u64_u32 v[25:26], null, s3, v11, v[1:2]
	v_add_co_ci_u32_e32 v13, vcc_lo, v65, v13, vcc_lo
	v_mov_b32_e32 v15, v0
	v_add_co_u32 v0, vcc_lo, v62, v23
	v_fmac_f16_e32 v35, 0x38b4, v81
	v_fmac_f16_e32 v34, 0xb8b4, v90
	v_fmac_f16_e32 v82, 0x38b4, v71
	v_add_co_ci_u32_e32 v1, vcc_lo, v65, v24, vcc_lo
	v_mad_u64_u32 v[23:24], null, s2, v16, 0
	v_fmac_f16_e32 v38, 0x38b4, v90
	v_fmac_f16_e32 v49, 0xb8b4, v71
	;; [unrolled: 1-line block ×5, first 2 shown]
	v_mov_b32_e32 v41, v25
	v_add_nc_u32_e32 v42, 0x333, v10
	v_lshlrev_b64 v[14:15], 2, v[14:15]
	v_fmac_f16_e32 v38, 0x34f2, v75
	v_fmac_f16_e32 v49, 0x34f2, v72
	v_mov_b32_e32 v8, v24
	v_pack_b32_f16 v27, v82, v34
	v_lshlrev_b64 v[25:26], 2, v[40:41]
	v_pack_b32_f16 v41, v47, v35
	v_mad_u64_u32 v[34:35], null, s2, v42, 0
	v_add_nc_u32_e32 v43, 0x46e, v10
	v_pack_b32_f16 v11, v49, v38
	v_add_co_u32 v14, vcc_lo, v62, v14
	v_mad_u64_u32 v[38:39], null, s3, v16, v[8:9]
	v_add_co_ci_u32_e32 v15, vcc_lo, v65, v15, vcc_lo
	v_pack_b32_f16 v16, v58, v37
	v_mad_u64_u32 v[36:37], null, s2, v43, 0
	v_add_co_u32 v25, vcc_lo, v62, v25
	v_mov_b32_e32 v8, v35
	v_add_co_ci_u32_e32 v26, vcc_lo, v65, v26, vcc_lo
	global_store_dword v[12:13], v27, off
	v_mov_b32_e32 v24, v38
	global_store_dword v[0:1], v11, off
	global_store_dword v[14:15], v41, off
	;; [unrolled: 1-line block ×3, first 2 shown]
	v_mul_hi_u32 v16, 0xa01a01a1, v9
	v_mad_u64_u32 v[39:40], null, s3, v42, v[8:9]
	v_mov_b32_e32 v0, v37
	v_lshlrev_b64 v[11:12], 2, v[23:24]
	v_add_nc_u32_e32 v23, 0x5a9, v10
	v_pack_b32_f16 v24, v29, v33
	v_pack_b32_f16 v21, v32, v21
	v_mad_u64_u32 v[0:1], null, s3, v43, v[0:1]
	v_sub_nc_u32_e32 v1, v9, v16
	v_mov_b32_e32 v35, v39
	v_mad_u64_u32 v[14:15], null, s2, v23, 0
	v_add_co_u32 v10, vcc_lo, v62, v11
	v_lshrrev_b32_e32 v25, 1, v1
	v_add_co_ci_u32_e32 v11, vcc_lo, v65, v12, vcc_lo
	v_lshlrev_b64 v[12:13], 2, v[34:35]
	v_mov_b32_e32 v37, v0
	v_mov_b32_e32 v8, v15
	v_add_nc_u32_e32 v25, v25, v16
	v_pack_b32_f16 v19, v30, v19
	v_fmac_f16_e32 v3, 0x34f2, v80
	v_add_co_u32 v0, vcc_lo, v62, v12
	v_add_co_ci_u32_e32 v1, vcc_lo, v65, v13, vcc_lo
	v_lshlrev_b64 v[12:13], 2, v[36:37]
	v_mad_u64_u32 v[15:16], null, s3, v23, v[8:9]
	v_lshrrev_b32_e32 v8, 8, v25
	v_pack_b32_f16 v16, v28, v31
	v_fmac_f16_e32 v7, 0x34f2, v93
	v_add_co_u32 v12, vcc_lo, v62, v12
	v_mad_u32_u24 v25, 0x4ec, v8, v9
	v_add_co_ci_u32_e32 v13, vcc_lo, v65, v13, vcc_lo
	global_store_dword v[10:11], v24, off
	global_store_dword v[0:1], v21, off
	;; [unrolled: 1-line block ×3, first 2 shown]
	v_add_nc_u32_e32 v16, 0x13b, v25
	v_mad_u64_u32 v[8:9], null, s2, v25, 0
	v_add_nc_u32_e32 v21, 0x276, v25
	v_lshlrev_b64 v[0:1], 2, v[14:15]
	v_mad_u64_u32 v[10:11], null, s2, v16, 0
	v_add_nc_u32_e32 v26, 0x3b1, v25
	v_mad_u64_u32 v[12:13], null, s2, v21, 0
	v_add_co_u32 v0, vcc_lo, v62, v0
	v_mad_u64_u32 v[23:24], null, s2, v26, 0
	v_mad_u64_u32 v[14:15], null, s3, v25, v[9:10]
	v_mad_u64_u32 v[15:16], null, s3, v16, v[11:12]
	v_mov_b32_e32 v11, v13
	v_add_co_ci_u32_e32 v1, vcc_lo, v65, v1, vcc_lo
	v_add_nc_u32_e32 v16, 0x4ec, v25
	v_mov_b32_e32 v9, v14
	v_mad_u64_u32 v[13:14], null, s3, v21, v[11:12]
	global_store_dword v[0:1], v19, off
	v_mov_b32_e32 v11, v15
	v_lshlrev_b64 v[0:1], 2, v[8:9]
	v_mov_b32_e32 v8, v24
	v_mad_u64_u32 v[14:15], null, s2, v16, 0
	v_lshlrev_b64 v[10:11], 2, v[10:11]
	v_lshlrev_b64 v[12:13], 2, v[12:13]
	v_mad_u64_u32 v[8:9], null, s3, v26, v[8:9]
	v_add_co_u32 v0, vcc_lo, v62, v0
	v_mov_b32_e32 v9, v15
	v_add_co_ci_u32_e32 v1, vcc_lo, v65, v1, vcc_lo
	v_fmac_f16_e32 v6, 0x34f2, v87
	v_mov_b32_e32 v24, v8
	v_mad_u64_u32 v[15:16], null, s3, v16, v[9:10]
	v_fmac_f16_e32 v18, 0x34f2, v88
	v_add_co_u32 v8, vcc_lo, v62, v10
	v_add_co_ci_u32_e32 v9, vcc_lo, v65, v11, vcc_lo
	v_lshlrev_b64 v[10:11], 2, v[23:24]
	v_pack_b32_f16 v16, v18, v7
	v_add_co_u32 v12, vcc_lo, v62, v12
	v_pack_b32_f16 v18, v6, v3
	v_lshlrev_b64 v[6:7], 2, v[14:15]
	v_fmac_f16_e32 v4, 0x34f2, v80
	v_fmac_f16_e32 v17, 0x34f2, v87
	v_add_co_ci_u32_e32 v13, vcc_lo, v65, v13, vcc_lo
	v_fmac_f16_e32 v5, 0x34f2, v88
	v_add_co_u32 v10, vcc_lo, v62, v10
	v_pack_b32_f16 v19, v22, v20
	v_add_co_ci_u32_e32 v11, vcc_lo, v65, v11, vcc_lo
	v_add_co_u32 v3, vcc_lo, v62, v6
	v_pack_b32_f16 v14, v17, v4
	v_add_co_ci_u32_e32 v4, vcc_lo, v65, v7, vcc_lo
	v_pack_b32_f16 v2, v5, v2
	global_store_dword v[0:1], v19, off
	global_store_dword v[8:9], v16, off
	global_store_dword v[12:13], v18, off
	global_store_dword v[10:11], v14, off
	global_store_dword v[3:4], v2, off
.LBB0_37:
	s_endpgm
	.section	.rodata,"a",@progbits
	.p2align	6, 0x0
	.amdhsa_kernel fft_rtc_fwd_len1575_factors_3_3_5_7_5_wgs_63_tpt_63_halfLds_half_ip_CI_sbrr_dirReg
		.amdhsa_group_segment_fixed_size 0
		.amdhsa_private_segment_fixed_size 0
		.amdhsa_kernarg_size 88
		.amdhsa_user_sgpr_count 6
		.amdhsa_user_sgpr_private_segment_buffer 1
		.amdhsa_user_sgpr_dispatch_ptr 0
		.amdhsa_user_sgpr_queue_ptr 0
		.amdhsa_user_sgpr_kernarg_segment_ptr 1
		.amdhsa_user_sgpr_dispatch_id 0
		.amdhsa_user_sgpr_flat_scratch_init 0
		.amdhsa_user_sgpr_private_segment_size 0
		.amdhsa_wavefront_size32 1
		.amdhsa_uses_dynamic_stack 0
		.amdhsa_system_sgpr_private_segment_wavefront_offset 0
		.amdhsa_system_sgpr_workgroup_id_x 1
		.amdhsa_system_sgpr_workgroup_id_y 0
		.amdhsa_system_sgpr_workgroup_id_z 0
		.amdhsa_system_sgpr_workgroup_info 0
		.amdhsa_system_vgpr_workitem_id 0
		.amdhsa_next_free_vgpr 148
		.amdhsa_next_free_sgpr 23
		.amdhsa_reserve_vcc 1
		.amdhsa_reserve_flat_scratch 0
		.amdhsa_float_round_mode_32 0
		.amdhsa_float_round_mode_16_64 0
		.amdhsa_float_denorm_mode_32 3
		.amdhsa_float_denorm_mode_16_64 3
		.amdhsa_dx10_clamp 1
		.amdhsa_ieee_mode 1
		.amdhsa_fp16_overflow 0
		.amdhsa_workgroup_processor_mode 1
		.amdhsa_memory_ordered 1
		.amdhsa_forward_progress 0
		.amdhsa_shared_vgpr_count 0
		.amdhsa_exception_fp_ieee_invalid_op 0
		.amdhsa_exception_fp_denorm_src 0
		.amdhsa_exception_fp_ieee_div_zero 0
		.amdhsa_exception_fp_ieee_overflow 0
		.amdhsa_exception_fp_ieee_underflow 0
		.amdhsa_exception_fp_ieee_inexact 0
		.amdhsa_exception_int_div_zero 0
	.end_amdhsa_kernel
	.text
.Lfunc_end0:
	.size	fft_rtc_fwd_len1575_factors_3_3_5_7_5_wgs_63_tpt_63_halfLds_half_ip_CI_sbrr_dirReg, .Lfunc_end0-fft_rtc_fwd_len1575_factors_3_3_5_7_5_wgs_63_tpt_63_halfLds_half_ip_CI_sbrr_dirReg
                                        ; -- End function
	.section	.AMDGPU.csdata,"",@progbits
; Kernel info:
; codeLenInByte = 19308
; NumSgprs: 25
; NumVgprs: 148
; ScratchSize: 0
; MemoryBound: 0
; FloatMode: 240
; IeeeMode: 1
; LDSByteSize: 0 bytes/workgroup (compile time only)
; SGPRBlocks: 3
; VGPRBlocks: 18
; NumSGPRsForWavesPerEU: 25
; NumVGPRsForWavesPerEU: 148
; Occupancy: 6
; WaveLimiterHint : 1
; COMPUTE_PGM_RSRC2:SCRATCH_EN: 0
; COMPUTE_PGM_RSRC2:USER_SGPR: 6
; COMPUTE_PGM_RSRC2:TRAP_HANDLER: 0
; COMPUTE_PGM_RSRC2:TGID_X_EN: 1
; COMPUTE_PGM_RSRC2:TGID_Y_EN: 0
; COMPUTE_PGM_RSRC2:TGID_Z_EN: 0
; COMPUTE_PGM_RSRC2:TIDIG_COMP_CNT: 0
	.text
	.p2alignl 6, 3214868480
	.fill 48, 4, 3214868480
	.type	__hip_cuid_3127e382175180ac,@object ; @__hip_cuid_3127e382175180ac
	.section	.bss,"aw",@nobits
	.globl	__hip_cuid_3127e382175180ac
__hip_cuid_3127e382175180ac:
	.byte	0                               ; 0x0
	.size	__hip_cuid_3127e382175180ac, 1

	.ident	"AMD clang version 19.0.0git (https://github.com/RadeonOpenCompute/llvm-project roc-6.4.0 25133 c7fe45cf4b819c5991fe208aaa96edf142730f1d)"
	.section	".note.GNU-stack","",@progbits
	.addrsig
	.addrsig_sym __hip_cuid_3127e382175180ac
	.amdgpu_metadata
---
amdhsa.kernels:
  - .args:
      - .actual_access:  read_only
        .address_space:  global
        .offset:         0
        .size:           8
        .value_kind:     global_buffer
      - .offset:         8
        .size:           8
        .value_kind:     by_value
      - .actual_access:  read_only
        .address_space:  global
        .offset:         16
        .size:           8
        .value_kind:     global_buffer
      - .actual_access:  read_only
        .address_space:  global
        .offset:         24
        .size:           8
        .value_kind:     global_buffer
      - .offset:         32
        .size:           8
        .value_kind:     by_value
      - .actual_access:  read_only
        .address_space:  global
        .offset:         40
        .size:           8
        .value_kind:     global_buffer
      - .actual_access:  read_only
        .address_space:  global
        .offset:         48
        .size:           8
        .value_kind:     global_buffer
      - .offset:         56
        .size:           4
        .value_kind:     by_value
      - .actual_access:  read_only
        .address_space:  global
        .offset:         64
        .size:           8
        .value_kind:     global_buffer
      - .actual_access:  read_only
        .address_space:  global
        .offset:         72
        .size:           8
        .value_kind:     global_buffer
      - .address_space:  global
        .offset:         80
        .size:           8
        .value_kind:     global_buffer
    .group_segment_fixed_size: 0
    .kernarg_segment_align: 8
    .kernarg_segment_size: 88
    .language:       OpenCL C
    .language_version:
      - 2
      - 0
    .max_flat_workgroup_size: 63
    .name:           fft_rtc_fwd_len1575_factors_3_3_5_7_5_wgs_63_tpt_63_halfLds_half_ip_CI_sbrr_dirReg
    .private_segment_fixed_size: 0
    .sgpr_count:     25
    .sgpr_spill_count: 0
    .symbol:         fft_rtc_fwd_len1575_factors_3_3_5_7_5_wgs_63_tpt_63_halfLds_half_ip_CI_sbrr_dirReg.kd
    .uniform_work_group_size: 1
    .uses_dynamic_stack: false
    .vgpr_count:     148
    .vgpr_spill_count: 0
    .wavefront_size: 32
    .workgroup_processor_mode: 1
amdhsa.target:   amdgcn-amd-amdhsa--gfx1030
amdhsa.version:
  - 1
  - 2
...

	.end_amdgpu_metadata
